;; amdgpu-corpus repo=ROCm/rocFFT kind=compiled arch=gfx1201 opt=O3
	.text
	.amdgcn_target "amdgcn-amd-amdhsa--gfx1201"
	.amdhsa_code_object_version 6
	.protected	fft_rtc_back_len480_factors_10_8_6_wgs_64_tpt_16_halfLds_dp_ip_CI_unitstride_sbrr_C2R_dirReg ; -- Begin function fft_rtc_back_len480_factors_10_8_6_wgs_64_tpt_16_halfLds_dp_ip_CI_unitstride_sbrr_C2R_dirReg
	.globl	fft_rtc_back_len480_factors_10_8_6_wgs_64_tpt_16_halfLds_dp_ip_CI_unitstride_sbrr_C2R_dirReg
	.p2align	8
	.type	fft_rtc_back_len480_factors_10_8_6_wgs_64_tpt_16_halfLds_dp_ip_CI_unitstride_sbrr_C2R_dirReg,@function
fft_rtc_back_len480_factors_10_8_6_wgs_64_tpt_16_halfLds_dp_ip_CI_unitstride_sbrr_C2R_dirReg: ; @fft_rtc_back_len480_factors_10_8_6_wgs_64_tpt_16_halfLds_dp_ip_CI_unitstride_sbrr_C2R_dirReg
; %bb.0:
	s_clause 0x2
	s_load_b128 s[4:7], s[0:1], 0x0
	s_load_b64 s[8:9], s[0:1], 0x50
	s_load_b64 s[10:11], s[0:1], 0x18
	v_lshrrev_b32_e32 v9, 4, v0
	v_mov_b32_e32 v3, 0
	v_mov_b32_e32 v1, 0
	;; [unrolled: 1-line block ×3, first 2 shown]
	s_delay_alu instid0(VALU_DEP_4) | instskip(NEXT) | instid1(VALU_DEP_4)
	v_lshl_or_b32 v5, ttmp9, 2, v9
	v_mov_b32_e32 v6, v3
	s_wait_kmcnt 0x0
	v_cmp_lt_u64_e64 s2, s[6:7], 2
	s_delay_alu instid0(VALU_DEP_1)
	s_and_b32 vcc_lo, exec_lo, s2
	s_cbranch_vccnz .LBB0_8
; %bb.1:
	s_load_b64 s[2:3], s[0:1], 0x10
	v_mov_b32_e32 v1, 0
	v_mov_b32_e32 v2, 0
	s_add_nc_u64 s[12:13], s[10:11], 8
	s_mov_b64 s[14:15], 1
	s_wait_kmcnt 0x0
	s_add_nc_u64 s[16:17], s[2:3], 8
	s_mov_b32 s3, 0
.LBB0_2:                                ; =>This Inner Loop Header: Depth=1
	s_load_b64 s[18:19], s[16:17], 0x0
                                        ; implicit-def: $vgpr7_vgpr8
	s_mov_b32 s2, exec_lo
	s_wait_kmcnt 0x0
	v_or_b32_e32 v4, s19, v6
	s_delay_alu instid0(VALU_DEP_1)
	v_cmpx_ne_u64_e32 0, v[3:4]
	s_wait_alu 0xfffe
	s_xor_b32 s20, exec_lo, s2
	s_cbranch_execz .LBB0_4
; %bb.3:                                ;   in Loop: Header=BB0_2 Depth=1
	s_cvt_f32_u32 s2, s18
	s_cvt_f32_u32 s21, s19
	s_sub_nc_u64 s[24:25], 0, s[18:19]
	s_wait_alu 0xfffe
	s_delay_alu instid0(SALU_CYCLE_1) | instskip(SKIP_1) | instid1(SALU_CYCLE_2)
	s_fmamk_f32 s2, s21, 0x4f800000, s2
	s_wait_alu 0xfffe
	v_s_rcp_f32 s2, s2
	s_delay_alu instid0(TRANS32_DEP_1) | instskip(SKIP_1) | instid1(SALU_CYCLE_2)
	s_mul_f32 s2, s2, 0x5f7ffffc
	s_wait_alu 0xfffe
	s_mul_f32 s21, s2, 0x2f800000
	s_wait_alu 0xfffe
	s_delay_alu instid0(SALU_CYCLE_2) | instskip(SKIP_1) | instid1(SALU_CYCLE_2)
	s_trunc_f32 s21, s21
	s_wait_alu 0xfffe
	s_fmamk_f32 s2, s21, 0xcf800000, s2
	s_cvt_u32_f32 s23, s21
	s_wait_alu 0xfffe
	s_delay_alu instid0(SALU_CYCLE_1) | instskip(SKIP_1) | instid1(SALU_CYCLE_2)
	s_cvt_u32_f32 s22, s2
	s_wait_alu 0xfffe
	s_mul_u64 s[26:27], s[24:25], s[22:23]
	s_wait_alu 0xfffe
	s_mul_hi_u32 s29, s22, s27
	s_mul_i32 s28, s22, s27
	s_mul_hi_u32 s2, s22, s26
	s_mul_i32 s30, s23, s26
	s_wait_alu 0xfffe
	s_add_nc_u64 s[28:29], s[2:3], s[28:29]
	s_mul_hi_u32 s21, s23, s26
	s_mul_hi_u32 s31, s23, s27
	s_add_co_u32 s2, s28, s30
	s_wait_alu 0xfffe
	s_add_co_ci_u32 s2, s29, s21
	s_mul_i32 s26, s23, s27
	s_add_co_ci_u32 s27, s31, 0
	s_wait_alu 0xfffe
	s_add_nc_u64 s[26:27], s[2:3], s[26:27]
	s_wait_alu 0xfffe
	v_add_co_u32 v4, s2, s22, s26
	s_delay_alu instid0(VALU_DEP_1) | instskip(SKIP_1) | instid1(VALU_DEP_1)
	s_cmp_lg_u32 s2, 0
	s_add_co_ci_u32 s23, s23, s27
	v_readfirstlane_b32 s22, v4
	s_wait_alu 0xfffe
	s_delay_alu instid0(VALU_DEP_1)
	s_mul_u64 s[24:25], s[24:25], s[22:23]
	s_wait_alu 0xfffe
	s_mul_hi_u32 s27, s22, s25
	s_mul_i32 s26, s22, s25
	s_mul_hi_u32 s2, s22, s24
	s_mul_i32 s28, s23, s24
	s_wait_alu 0xfffe
	s_add_nc_u64 s[26:27], s[2:3], s[26:27]
	s_mul_hi_u32 s21, s23, s24
	s_mul_hi_u32 s22, s23, s25
	s_wait_alu 0xfffe
	s_add_co_u32 s2, s26, s28
	s_add_co_ci_u32 s2, s27, s21
	s_mul_i32 s24, s23, s25
	s_add_co_ci_u32 s25, s22, 0
	s_wait_alu 0xfffe
	s_add_nc_u64 s[24:25], s[2:3], s[24:25]
	s_wait_alu 0xfffe
	v_add_co_u32 v4, s2, v4, s24
	s_delay_alu instid0(VALU_DEP_1) | instskip(SKIP_1) | instid1(VALU_DEP_1)
	s_cmp_lg_u32 s2, 0
	s_add_co_ci_u32 s2, s23, s25
	v_mul_hi_u32 v14, v5, v4
	s_wait_alu 0xfffe
	v_mad_co_u64_u32 v[7:8], null, v5, s2, 0
	v_mad_co_u64_u32 v[10:11], null, v6, v4, 0
	;; [unrolled: 1-line block ×3, first 2 shown]
	s_delay_alu instid0(VALU_DEP_3) | instskip(SKIP_1) | instid1(VALU_DEP_4)
	v_add_co_u32 v4, vcc_lo, v14, v7
	s_wait_alu 0xfffd
	v_add_co_ci_u32_e32 v7, vcc_lo, 0, v8, vcc_lo
	s_delay_alu instid0(VALU_DEP_2) | instskip(SKIP_1) | instid1(VALU_DEP_2)
	v_add_co_u32 v4, vcc_lo, v4, v10
	s_wait_alu 0xfffd
	v_add_co_ci_u32_e32 v4, vcc_lo, v7, v11, vcc_lo
	s_wait_alu 0xfffd
	v_add_co_ci_u32_e32 v7, vcc_lo, 0, v13, vcc_lo
	s_delay_alu instid0(VALU_DEP_2) | instskip(SKIP_1) | instid1(VALU_DEP_2)
	v_add_co_u32 v4, vcc_lo, v4, v12
	s_wait_alu 0xfffd
	v_add_co_ci_u32_e32 v10, vcc_lo, 0, v7, vcc_lo
	s_delay_alu instid0(VALU_DEP_2) | instskip(SKIP_1) | instid1(VALU_DEP_3)
	v_mul_lo_u32 v11, s19, v4
	v_mad_co_u64_u32 v[7:8], null, s18, v4, 0
	v_mul_lo_u32 v12, s18, v10
	s_delay_alu instid0(VALU_DEP_2) | instskip(NEXT) | instid1(VALU_DEP_2)
	v_sub_co_u32 v7, vcc_lo, v5, v7
	v_add3_u32 v8, v8, v12, v11
	s_delay_alu instid0(VALU_DEP_1) | instskip(SKIP_1) | instid1(VALU_DEP_1)
	v_sub_nc_u32_e32 v11, v6, v8
	s_wait_alu 0xfffd
	v_subrev_co_ci_u32_e64 v11, s2, s19, v11, vcc_lo
	v_add_co_u32 v12, s2, v4, 2
	s_wait_alu 0xf1ff
	v_add_co_ci_u32_e64 v13, s2, 0, v10, s2
	v_sub_co_u32 v14, s2, v7, s18
	v_sub_co_ci_u32_e32 v8, vcc_lo, v6, v8, vcc_lo
	s_wait_alu 0xf1ff
	v_subrev_co_ci_u32_e64 v11, s2, 0, v11, s2
	s_delay_alu instid0(VALU_DEP_3) | instskip(NEXT) | instid1(VALU_DEP_3)
	v_cmp_le_u32_e32 vcc_lo, s18, v14
	v_cmp_eq_u32_e64 s2, s19, v8
	s_wait_alu 0xfffd
	v_cndmask_b32_e64 v14, 0, -1, vcc_lo
	v_cmp_le_u32_e32 vcc_lo, s19, v11
	s_wait_alu 0xfffd
	v_cndmask_b32_e64 v15, 0, -1, vcc_lo
	v_cmp_le_u32_e32 vcc_lo, s18, v7
	;; [unrolled: 3-line block ×3, first 2 shown]
	s_wait_alu 0xfffd
	v_cndmask_b32_e64 v16, 0, -1, vcc_lo
	v_cmp_eq_u32_e32 vcc_lo, s19, v11
	s_wait_alu 0xf1ff
	s_delay_alu instid0(VALU_DEP_2)
	v_cndmask_b32_e64 v7, v16, v7, s2
	s_wait_alu 0xfffd
	v_cndmask_b32_e32 v11, v15, v14, vcc_lo
	v_add_co_u32 v14, vcc_lo, v4, 1
	s_wait_alu 0xfffd
	v_add_co_ci_u32_e32 v15, vcc_lo, 0, v10, vcc_lo
	s_delay_alu instid0(VALU_DEP_3) | instskip(SKIP_1) | instid1(VALU_DEP_2)
	v_cmp_ne_u32_e32 vcc_lo, 0, v11
	s_wait_alu 0xfffd
	v_dual_cndmask_b32 v8, v15, v13 :: v_dual_cndmask_b32 v11, v14, v12
	v_cmp_ne_u32_e32 vcc_lo, 0, v7
	s_wait_alu 0xfffd
	s_delay_alu instid0(VALU_DEP_2)
	v_dual_cndmask_b32 v8, v10, v8 :: v_dual_cndmask_b32 v7, v4, v11
.LBB0_4:                                ;   in Loop: Header=BB0_2 Depth=1
	s_wait_alu 0xfffe
	s_and_not1_saveexec_b32 s2, s20
	s_cbranch_execz .LBB0_6
; %bb.5:                                ;   in Loop: Header=BB0_2 Depth=1
	v_cvt_f32_u32_e32 v4, s18
	s_sub_co_i32 s20, 0, s18
	s_delay_alu instid0(VALU_DEP_1) | instskip(NEXT) | instid1(TRANS32_DEP_1)
	v_rcp_iflag_f32_e32 v4, v4
	v_mul_f32_e32 v4, 0x4f7ffffe, v4
	s_delay_alu instid0(VALU_DEP_1) | instskip(SKIP_1) | instid1(VALU_DEP_1)
	v_cvt_u32_f32_e32 v4, v4
	s_wait_alu 0xfffe
	v_mul_lo_u32 v7, s20, v4
	s_delay_alu instid0(VALU_DEP_1) | instskip(NEXT) | instid1(VALU_DEP_1)
	v_mul_hi_u32 v7, v4, v7
	v_add_nc_u32_e32 v4, v4, v7
	s_delay_alu instid0(VALU_DEP_1) | instskip(NEXT) | instid1(VALU_DEP_1)
	v_mul_hi_u32 v4, v5, v4
	v_mul_lo_u32 v7, v4, s18
	v_add_nc_u32_e32 v8, 1, v4
	s_delay_alu instid0(VALU_DEP_2) | instskip(NEXT) | instid1(VALU_DEP_1)
	v_sub_nc_u32_e32 v7, v5, v7
	v_subrev_nc_u32_e32 v10, s18, v7
	v_cmp_le_u32_e32 vcc_lo, s18, v7
	s_wait_alu 0xfffd
	s_delay_alu instid0(VALU_DEP_2) | instskip(NEXT) | instid1(VALU_DEP_1)
	v_dual_cndmask_b32 v7, v7, v10 :: v_dual_cndmask_b32 v4, v4, v8
	v_cmp_le_u32_e32 vcc_lo, s18, v7
	s_delay_alu instid0(VALU_DEP_2) | instskip(SKIP_1) | instid1(VALU_DEP_1)
	v_add_nc_u32_e32 v8, 1, v4
	s_wait_alu 0xfffd
	v_dual_cndmask_b32 v7, v4, v8 :: v_dual_mov_b32 v8, v3
.LBB0_6:                                ;   in Loop: Header=BB0_2 Depth=1
	s_wait_alu 0xfffe
	s_or_b32 exec_lo, exec_lo, s2
	s_load_b64 s[20:21], s[12:13], 0x0
	s_delay_alu instid0(VALU_DEP_1)
	v_mul_lo_u32 v4, v8, s18
	v_mul_lo_u32 v12, v7, s19
	v_mad_co_u64_u32 v[10:11], null, v7, s18, 0
	s_add_nc_u64 s[14:15], s[14:15], 1
	s_add_nc_u64 s[12:13], s[12:13], 8
	s_wait_alu 0xfffe
	v_cmp_ge_u64_e64 s2, s[14:15], s[6:7]
	s_add_nc_u64 s[16:17], s[16:17], 8
	s_delay_alu instid0(VALU_DEP_2) | instskip(NEXT) | instid1(VALU_DEP_3)
	v_add3_u32 v4, v11, v12, v4
	v_sub_co_u32 v5, vcc_lo, v5, v10
	s_wait_alu 0xfffd
	s_delay_alu instid0(VALU_DEP_2) | instskip(SKIP_3) | instid1(VALU_DEP_2)
	v_sub_co_ci_u32_e32 v4, vcc_lo, v6, v4, vcc_lo
	s_and_b32 vcc_lo, exec_lo, s2
	s_wait_kmcnt 0x0
	v_mul_lo_u32 v6, s21, v5
	v_mul_lo_u32 v4, s20, v4
	v_mad_co_u64_u32 v[1:2], null, s20, v5, v[1:2]
	s_delay_alu instid0(VALU_DEP_1)
	v_add3_u32 v2, v6, v2, v4
	s_wait_alu 0xfffe
	s_cbranch_vccnz .LBB0_9
; %bb.7:                                ;   in Loop: Header=BB0_2 Depth=1
	v_dual_mov_b32 v5, v7 :: v_dual_mov_b32 v6, v8
	s_branch .LBB0_2
.LBB0_8:
	v_dual_mov_b32 v8, v6 :: v_dual_mov_b32 v7, v5
.LBB0_9:
	s_lshl_b64 s[2:3], s[6:7], 3
	v_mul_u32_u24_e32 v161, 0x1e1, v9
	s_wait_alu 0xfffe
	s_add_nc_u64 s[2:3], s[10:11], s[2:3]
	v_and_b32_e32 v128, 15, v0
	s_load_b64 s[2:3], s[2:3], 0x0
	s_load_b64 s[0:1], s[0:1], 0x20
	v_lshlrev_b32_e32 v164, 4, v161
	s_wait_kmcnt 0x0
	v_mul_lo_u32 v3, s2, v8
	v_mul_lo_u32 v4, s3, v7
	v_mad_co_u64_u32 v[1:2], null, s2, v7, v[1:2]
	v_cmp_gt_u64_e32 vcc_lo, s[0:1], v[7:8]
	s_delay_alu instid0(VALU_DEP_2) | instskip(NEXT) | instid1(VALU_DEP_1)
	v_add3_u32 v2, v4, v2, v3
	v_lshlrev_b64_e32 v[130:131], 4, v[1:2]
	s_and_saveexec_b32 s1, vcc_lo
	s_cbranch_execz .LBB0_13
; %bb.10:
	v_lshlrev_b32_e32 v2, 4, v128
	s_delay_alu instid0(VALU_DEP_2) | instskip(SKIP_2) | instid1(VALU_DEP_2)
	v_add_co_u32 v0, s0, s8, v130
	s_wait_alu 0xf1ff
	v_add_co_ci_u32_e64 v1, s0, s9, v131, s0
	v_add_co_u32 v119, s0, v0, v2
	s_wait_alu 0xf1ff
	s_delay_alu instid0(VALU_DEP_2)
	v_add_co_ci_u32_e64 v120, s0, 0, v1, s0
	v_add3_u32 v2, 0, v164, v2
	v_cmp_eq_u32_e64 s0, 15, v128
	s_clause 0x1d
	global_load_b128 v[3:6], v[119:120], off
	global_load_b128 v[7:10], v[119:120], off offset:256
	global_load_b128 v[11:14], v[119:120], off offset:512
	;; [unrolled: 1-line block ×29, first 2 shown]
	s_wait_loadcnt 0x1d
	ds_store_b128 v2, v[3:6]
	s_wait_loadcnt 0x1c
	ds_store_b128 v2, v[7:10] offset:256
	s_wait_loadcnt 0x1b
	ds_store_b128 v2, v[11:14] offset:512
	;; [unrolled: 2-line block ×29, first 2 shown]
	s_and_saveexec_b32 s2, s0
	s_cbranch_execz .LBB0_12
; %bb.11:
	global_load_b128 v[3:6], v[0:1], off offset:7680
	v_mov_b32_e32 v128, 15
	s_wait_loadcnt 0x0
	ds_store_b128 v2, v[3:6] offset:7440
.LBB0_12:
	s_wait_alu 0xfffe
	s_or_b32 exec_lo, exec_lo, s2
.LBB0_13:
	s_wait_alu 0xfffe
	s_or_b32 exec_lo, exec_lo, s1
	v_lshl_add_u32 v160, v161, 4, 0
	v_lshlrev_b32_e32 v11, 4, v128
	global_wb scope:SCOPE_SE
	s_wait_dscnt 0x0
	s_barrier_signal -1
	s_barrier_wait -1
	global_inv scope:SCOPE_SE
	v_add_nc_u32_e32 v162, v160, v11
	v_sub_nc_u32_e32 v10, v160, v11
	v_cmp_ne_u32_e64 s0, 0, v128
                                        ; implicit-def: $vgpr4_vgpr5
	ds_load_b64 v[6:7], v162
	ds_load_b64 v[8:9], v10 offset:7680
	s_wait_dscnt 0x0
	v_add_f64_e32 v[0:1], v[6:7], v[8:9]
	v_add_f64_e64 v[2:3], v[6:7], -v[8:9]
	s_and_saveexec_b32 s1, s0
	s_wait_alu 0xfffe
	s_xor_b32 s0, exec_lo, s1
	s_cbranch_execz .LBB0_15
; %bb.14:
	global_load_b128 v[2:5], v11, s[4:5] offset:7520
	ds_load_b64 v[0:1], v10 offset:7688
	ds_load_b64 v[11:12], v162 offset:8
	v_add_f64_e32 v[13:14], v[6:7], v[8:9]
	v_add_f64_e64 v[15:16], v[6:7], -v[8:9]
	v_mov_b32_e32 v129, 0
	s_wait_dscnt 0x0
	v_add_f64_e32 v[6:7], v[0:1], v[11:12]
	v_add_f64_e64 v[0:1], v[11:12], -v[0:1]
	s_wait_loadcnt 0x0
	s_delay_alu instid0(VALU_DEP_4) | instskip(SKIP_1) | instid1(VALU_DEP_3)
	v_fma_f64 v[8:9], v[15:16], v[4:5], v[13:14]
	v_fma_f64 v[11:12], -v[15:16], v[4:5], v[13:14]
	v_fma_f64 v[13:14], v[6:7], v[4:5], -v[0:1]
	v_fma_f64 v[4:5], v[6:7], v[4:5], v[0:1]
	s_delay_alu instid0(VALU_DEP_4) | instskip(NEXT) | instid1(VALU_DEP_4)
	v_fma_f64 v[0:1], -v[6:7], v[2:3], v[8:9]
	v_fma_f64 v[6:7], v[6:7], v[2:3], v[11:12]
	s_delay_alu instid0(VALU_DEP_4) | instskip(NEXT) | instid1(VALU_DEP_4)
	v_fma_f64 v[8:9], v[15:16], v[2:3], v[13:14]
	v_fma_f64 v[2:3], v[15:16], v[2:3], v[4:5]
	v_dual_mov_b32 v4, v128 :: v_dual_mov_b32 v5, v129
	ds_store_b128 v10, v[6:9] offset:7680
.LBB0_15:
	s_wait_alu 0xfffe
	s_and_not1_saveexec_b32 s0, s0
	s_cbranch_execz .LBB0_17
; %bb.16:
	ds_load_b128 v[4:7], v160 offset:3840
	s_wait_dscnt 0x0
	v_add_f64_e32 v[11:12], v[4:5], v[4:5]
	v_mul_f64_e32 v[13:14], -2.0, v[6:7]
	v_mov_b32_e32 v4, 0
	v_mov_b32_e32 v5, 0
	ds_store_b128 v160, v[11:14] offset:3840
.LBB0_17:
	s_wait_alu 0xfffe
	s_or_b32 exec_lo, exec_lo, s0
	v_lshlrev_b64_e32 v[4:5], 4, v[4:5]
	s_add_nc_u64 s[0:1], s[4:5], 0x1d60
	v_lshl_add_u32 v163, v128, 4, 0
	s_mov_b32 s18, 0x134454ff
	s_mov_b32 s19, 0xbfee6f0e
	;; [unrolled: 1-line block ×3, first 2 shown]
	s_wait_alu 0xfffe
	v_add_co_u32 v4, s0, s0, v4
	s_wait_alu 0xf1ff
	v_add_co_ci_u32_e64 v5, s0, s1, v5, s0
	v_add_nc_u32_e32 v129, v163, v164
	s_mov_b32 s2, s18
	s_mov_b32 s16, 0x4755a5e
	s_clause 0x1
	global_load_b128 v[6:9], v[4:5], off offset:256
	global_load_b128 v[11:14], v[4:5], off offset:512
	ds_store_b128 v162, v[0:3]
	ds_load_b128 v[0:3], v162 offset:256
	ds_load_b128 v[15:18], v10 offset:7424
	global_load_b128 v[19:22], v[4:5], off offset:768
	s_mov_b32 s17, 0xbfe2cf23
	s_mov_b32 s1, 0x3fe2cf23
	;; [unrolled: 1-line block ×6, first 2 shown]
	s_wait_alu 0xfffe
	s_mov_b32 s12, s6
	s_mov_b32 s14, 0x9b97f4a8
	;; [unrolled: 1-line block ×4, first 2 shown]
	s_wait_alu 0xfffe
	s_mov_b32 s10, s14
	s_wait_dscnt 0x0
	v_add_f64_e32 v[23:24], v[0:1], v[15:16]
	v_add_f64_e32 v[25:26], v[17:18], v[2:3]
	v_add_f64_e64 v[27:28], v[0:1], -v[15:16]
	v_add_f64_e64 v[0:1], v[2:3], -v[17:18]
	s_wait_loadcnt 0x2
	s_delay_alu instid0(VALU_DEP_2) | instskip(NEXT) | instid1(VALU_DEP_2)
	v_fma_f64 v[2:3], v[27:28], v[8:9], v[23:24]
	v_fma_f64 v[15:16], v[25:26], v[8:9], v[0:1]
	v_fma_f64 v[17:18], -v[27:28], v[8:9], v[23:24]
	v_fma_f64 v[8:9], v[25:26], v[8:9], -v[0:1]
	s_delay_alu instid0(VALU_DEP_4) | instskip(NEXT) | instid1(VALU_DEP_4)
	v_fma_f64 v[0:1], -v[25:26], v[6:7], v[2:3]
	v_fma_f64 v[2:3], v[27:28], v[6:7], v[15:16]
	s_delay_alu instid0(VALU_DEP_4) | instskip(NEXT) | instid1(VALU_DEP_4)
	v_fma_f64 v[15:16], v[25:26], v[6:7], v[17:18]
	v_fma_f64 v[17:18], v[27:28], v[6:7], v[8:9]
	ds_store_b128 v162, v[0:3] offset:256
	ds_store_b128 v10, v[15:18] offset:7424
	ds_load_b128 v[0:3], v162 offset:512
	ds_load_b128 v[6:9], v10 offset:7168
	global_load_b128 v[15:18], v[4:5], off offset:1024
	s_wait_dscnt 0x0
	v_add_f64_e32 v[23:24], v[0:1], v[6:7]
	v_add_f64_e32 v[25:26], v[8:9], v[2:3]
	v_add_f64_e64 v[27:28], v[0:1], -v[6:7]
	v_add_f64_e64 v[0:1], v[2:3], -v[8:9]
	s_wait_loadcnt 0x2
	s_delay_alu instid0(VALU_DEP_2) | instskip(NEXT) | instid1(VALU_DEP_2)
	v_fma_f64 v[2:3], v[27:28], v[13:14], v[23:24]
	v_fma_f64 v[6:7], v[25:26], v[13:14], v[0:1]
	v_fma_f64 v[8:9], -v[27:28], v[13:14], v[23:24]
	v_fma_f64 v[13:14], v[25:26], v[13:14], -v[0:1]
	s_delay_alu instid0(VALU_DEP_4) | instskip(NEXT) | instid1(VALU_DEP_4)
	v_fma_f64 v[0:1], -v[25:26], v[11:12], v[2:3]
	v_fma_f64 v[2:3], v[27:28], v[11:12], v[6:7]
	s_delay_alu instid0(VALU_DEP_4) | instskip(NEXT) | instid1(VALU_DEP_4)
	v_fma_f64 v[6:7], v[25:26], v[11:12], v[8:9]
	v_fma_f64 v[8:9], v[27:28], v[11:12], v[13:14]
	ds_store_b128 v162, v[0:3] offset:512
	ds_store_b128 v10, v[6:9] offset:7168
	ds_load_b128 v[0:3], v162 offset:768
	ds_load_b128 v[6:9], v10 offset:6912
	global_load_b128 v[11:14], v[4:5], off offset:1280
	;; [unrolled: 22-line block ×11, first 2 shown]
	s_wait_dscnt 0x0
	v_add_f64_e32 v[4:5], v[0:1], v[6:7]
	v_add_f64_e32 v[23:24], v[8:9], v[2:3]
	v_add_f64_e64 v[6:7], v[0:1], -v[6:7]
	v_add_f64_e64 v[0:1], v[2:3], -v[8:9]
	s_wait_loadcnt 0x2
	s_delay_alu instid0(VALU_DEP_2) | instskip(NEXT) | instid1(VALU_DEP_2)
	v_fma_f64 v[2:3], v[6:7], v[21:22], v[4:5]
	v_fma_f64 v[8:9], v[23:24], v[21:22], v[0:1]
	v_fma_f64 v[4:5], -v[6:7], v[21:22], v[4:5]
	v_fma_f64 v[21:22], v[23:24], v[21:22], -v[0:1]
	s_delay_alu instid0(VALU_DEP_4) | instskip(NEXT) | instid1(VALU_DEP_4)
	v_fma_f64 v[0:1], -v[23:24], v[19:20], v[2:3]
	v_fma_f64 v[2:3], v[6:7], v[19:20], v[8:9]
	s_delay_alu instid0(VALU_DEP_4) | instskip(NEXT) | instid1(VALU_DEP_4)
	v_fma_f64 v[4:5], v[23:24], v[19:20], v[4:5]
	v_fma_f64 v[6:7], v[6:7], v[19:20], v[21:22]
	ds_store_b128 v162, v[0:3] offset:3072
	ds_store_b128 v10, v[4:7] offset:4608
	ds_load_b128 v[0:3], v162 offset:3328
	ds_load_b128 v[4:7], v10 offset:4352
	s_wait_dscnt 0x0
	v_add_f64_e32 v[8:9], v[0:1], v[4:5]
	v_add_f64_e32 v[19:20], v[6:7], v[2:3]
	v_add_f64_e64 v[21:22], v[0:1], -v[4:5]
	v_add_f64_e64 v[0:1], v[2:3], -v[6:7]
	s_wait_loadcnt 0x1
	s_delay_alu instid0(VALU_DEP_2) | instskip(NEXT) | instid1(VALU_DEP_2)
	v_fma_f64 v[2:3], v[21:22], v[17:18], v[8:9]
	v_fma_f64 v[4:5], v[19:20], v[17:18], v[0:1]
	v_fma_f64 v[6:7], -v[21:22], v[17:18], v[8:9]
	v_fma_f64 v[8:9], v[19:20], v[17:18], -v[0:1]
	s_delay_alu instid0(VALU_DEP_4) | instskip(NEXT) | instid1(VALU_DEP_4)
	v_fma_f64 v[0:1], -v[19:20], v[15:16], v[2:3]
	v_fma_f64 v[2:3], v[21:22], v[15:16], v[4:5]
	s_delay_alu instid0(VALU_DEP_4) | instskip(NEXT) | instid1(VALU_DEP_4)
	v_fma_f64 v[4:5], v[19:20], v[15:16], v[6:7]
	v_fma_f64 v[6:7], v[21:22], v[15:16], v[8:9]
	ds_store_b128 v162, v[0:3] offset:3328
	ds_store_b128 v10, v[4:7] offset:4352
	ds_load_b128 v[0:3], v162 offset:3584
	ds_load_b128 v[4:7], v10 offset:4096
	s_wait_dscnt 0x0
	v_add_f64_e32 v[8:9], v[0:1], v[4:5]
	v_add_f64_e32 v[15:16], v[6:7], v[2:3]
	v_add_f64_e64 v[17:18], v[0:1], -v[4:5]
	v_add_f64_e64 v[0:1], v[2:3], -v[6:7]
	s_wait_loadcnt 0x0
	s_delay_alu instid0(VALU_DEP_2) | instskip(NEXT) | instid1(VALU_DEP_2)
	v_fma_f64 v[2:3], v[17:18], v[13:14], v[8:9]
	v_fma_f64 v[4:5], v[15:16], v[13:14], v[0:1]
	v_fma_f64 v[6:7], -v[17:18], v[13:14], v[8:9]
	v_fma_f64 v[8:9], v[15:16], v[13:14], -v[0:1]
	s_delay_alu instid0(VALU_DEP_4) | instskip(NEXT) | instid1(VALU_DEP_4)
	v_fma_f64 v[0:1], -v[15:16], v[11:12], v[2:3]
	v_fma_f64 v[2:3], v[17:18], v[11:12], v[4:5]
	s_delay_alu instid0(VALU_DEP_4) | instskip(NEXT) | instid1(VALU_DEP_4)
	v_fma_f64 v[4:5], v[15:16], v[11:12], v[6:7]
	v_fma_f64 v[6:7], v[17:18], v[11:12], v[8:9]
	ds_store_b128 v162, v[0:3] offset:3584
	ds_store_b128 v10, v[4:7] offset:4096
	global_wb scope:SCOPE_SE
	s_wait_dscnt 0x0
	s_barrier_signal -1
	s_barrier_wait -1
	global_inv scope:SCOPE_SE
	global_wb scope:SCOPE_SE
	s_barrier_signal -1
	s_barrier_wait -1
	global_inv scope:SCOPE_SE
	ds_load_b128 v[32:35], v162
	ds_load_b128 v[36:39], v129 offset:256
	ds_load_b128 v[80:83], v129 offset:1536
	;; [unrolled: 1-line block ×29, first 2 shown]
	s_wait_dscnt 0x1b
	v_add_f64_e32 v[144:145], v[32:33], v[80:81]
	v_add_f64_e32 v[146:147], v[34:35], v[82:83]
	s_wait_dscnt 0x13
	v_add_f64_e32 v[148:149], v[68:69], v[106:107]
	s_wait_dscnt 0x11
	v_add_f64_e32 v[181:182], v[80:81], v[0:1]
	v_add_f64_e32 v[185:186], v[86:87], v[10:11]
	;; [unrolled: 1-line block ×3, first 2 shown]
	s_wait_dscnt 0xd
	v_add_f64_e32 v[197:198], v[90:91], v[30:31]
	v_add_f64_e32 v[154:155], v[70:71], v[108:109]
	;; [unrolled: 1-line block ×4, first 2 shown]
	s_wait_dscnt 0xa
	v_add_f64_e32 v[235:236], v[60:61], v[16:17]
	v_add_f64_e32 v[158:159], v[84:85], v[8:9]
	s_wait_dscnt 0x7
	v_add_f64_e32 v[215:216], v[167:168], v[152:153]
	v_add_f64_e64 v[100:101], v[86:87], -v[10:11]
	v_add_f64_e64 v[177:178], v[80:81], -v[84:85]
	;; [unrolled: 1-line block ×3, first 2 shown]
	s_wait_dscnt 0x3
	v_add_f64_e32 v[221:222], v[175:176], v[54:55]
	v_add_f64_e64 v[183:184], v[84:85], -v[80:81]
	s_wait_dscnt 0x1
	v_add_f64_e32 v[225:226], v[152:153], v[46:47]
	v_add_f64_e64 v[104:105], v[80:81], -v[0:1]
	v_add_f64_e64 v[80:81], v[84:85], -v[8:9]
	;; [unrolled: 1-line block ×5, first 2 shown]
	v_add_f64_e32 v[193:194], v[88:89], v[28:29]
	v_add_f64_e64 v[195:196], v[106:107], -v[88:89]
	v_add_f64_e64 v[138:139], v[88:89], -v[106:107]
	;; [unrolled: 1-line block ×3, first 2 shown]
	v_add_f64_e32 v[205:206], v[108:109], v[22:23]
	v_add_f64_e32 v[211:212], v[76:77], v[4:5]
	v_add_f64_e64 v[136:137], v[152:153], -v[175:176]
	v_add_f64_e32 v[229:230], v[58:59], v[62:63]
	v_add_f64_e32 v[231:232], v[64:65], v[24:25]
	;; [unrolled: 1-line block ×4, first 2 shown]
	v_add_f64_e64 v[102:103], v[82:83], -v[2:3]
	v_add_f64_e64 v[82:83], v[90:91], -v[30:31]
	;; [unrolled: 1-line block ×3, first 2 shown]
	v_add_f64_e32 v[84:85], v[144:145], v[84:85]
	v_add_f64_e32 v[86:87], v[146:147], v[86:87]
	;; [unrolled: 1-line block ×3, first 2 shown]
	v_fma_f64 v[146:147], v[181:182], -0.5, v[32:33]
	v_fma_f64 v[144:145], v[185:186], -0.5, v[34:35]
	;; [unrolled: 1-line block ×3, first 2 shown]
	v_add_f64_e64 v[181:182], v[175:176], -v[152:153]
	v_add_f64_e64 v[34:35], v[152:153], -v[46:47]
	v_fma_f64 v[152:153], v[197:198], -0.5, v[70:71]
	v_add_f64_e64 v[197:198], v[20:21], -v[28:29]
	v_add_f64_e64 v[140:141], v[90:91], -v[108:109]
	v_add_f64_e32 v[203:204], v[106:107], v[20:21]
	v_add_f64_e32 v[207:208], v[72:73], v[12:13]
	;; [unrolled: 1-line block ×12, first 2 shown]
	v_add_f64_e64 v[142:143], v[76:77], -v[72:73]
	v_add_f64_e64 v[124:125], v[72:73], -v[76:77]
	;; [unrolled: 1-line block ×4, first 2 shown]
	v_add_f64_e32 v[175:176], v[215:216], v[175:176]
	v_fma_f64 v[215:216], v[221:222], -0.5, v[167:168]
	v_fma_f64 v[167:168], v[225:226], -0.5, v[167:168]
	;; [unrolled: 1-line block ×3, first 2 shown]
	v_add_f64_e64 v[235:236], v[22:23], -v[30:31]
	v_add_f64_e64 v[112:113], v[108:109], -v[22:23]
	;; [unrolled: 1-line block ×9, first 2 shown]
	v_fma_f64 v[74:75], v[158:159], -0.5, v[32:33]
	v_add_f64_e64 v[72:73], v[150:151], -v[44:45]
	v_add_f64_e64 v[32:33], v[66:67], -v[26:27]
	v_fma_f64 v[150:151], v[193:194], -0.5, v[68:69]
	v_fma_f64 v[70:71], v[205:206], -0.5, v[70:71]
	v_add_f64_e64 v[193:194], v[62:63], -v[66:67]
	v_fma_f64 v[205:206], v[211:212], -0.5, v[36:37]
	v_add_f64_e64 v[211:212], v[66:67], -v[62:63]
	v_add_f64_e32 v[221:222], v[229:230], v[66:67]
	v_fma_f64 v[66:67], v[231:232], -0.5, v[56:57]
	v_add_f64_e32 v[56:57], v[177:178], v[179:180]
	v_add_f64_e32 v[179:180], v[187:188], v[189:190]
	;; [unrolled: 1-line block ×3, first 2 shown]
	v_add_f64_e64 v[195:196], v[6:7], -v[14:15]
	v_fma_f64 v[158:159], v[233:234], -0.5, v[58:59]
	v_fma_f64 v[58:59], v[237:238], -0.5, v[58:59]
	v_add_f64_e64 v[237:238], v[8:9], -v[0:1]
	v_add_f64_e64 v[177:178], v[30:31], -v[22:23]
	;; [unrolled: 1-line block ×5, first 2 shown]
	v_add_f64_e32 v[239:240], v[96:97], v[48:49]
	v_add_f64_e32 v[247:248], v[171:172], v[94:95]
	v_fma_f64 v[68:69], v[203:204], -0.5, v[68:69]
	v_add_f64_e64 v[185:186], v[60:61], -v[64:65]
	v_add_f64_e64 v[191:192], v[64:65], -v[60:61]
	v_add_f64_e32 v[173:174], v[213:214], v[173:174]
	v_fma_f64 v[203:204], v[207:208], -0.5, v[36:37]
	v_fma_f64 v[207:208], v[209:210], -0.5, v[38:39]
	;; [unrolled: 1-line block ×3, first 2 shown]
	v_add_f64_e64 v[36:37], v[64:65], -v[24:25]
	v_fma_f64 v[213:214], v[219:220], -0.5, v[165:166]
	v_fma_f64 v[165:166], v[223:224], -0.5, v[165:166]
	v_add_f64_e64 v[217:218], v[92:93], -v[96:97]
	v_add_f64_e32 v[219:220], v[227:228], v[64:65]
	v_add_f64_e64 v[223:224], v[96:97], -v[92:93]
	v_add_f64_e64 v[64:65], v[96:97], -v[48:49]
	v_add_f64_e32 v[96:97], v[201:202], v[96:97]
	v_add_f64_e64 v[201:202], v[10:11], -v[2:3]
	v_add_f64_e32 v[197:198], v[199:200], v[235:236]
	;; [unrolled: 2-line block ×3, first 2 shown]
	v_add_f64_e64 v[235:236], v[46:47], -v[54:55]
	s_wait_dscnt 0x0
	v_add_f64_e32 v[245:246], v[94:95], v[42:43]
	v_add_f64_e64 v[38:39], v[62:63], -v[18:19]
	v_add_f64_e64 v[62:63], v[98:99], -v[50:51]
	v_add_f64_e64 v[227:228], v[94:95], -v[98:99]
	v_add_f64_e64 v[229:230], v[98:99], -v[94:95]
	v_add_f64_e32 v[243:244], v[92:93], v[40:41]
	v_add_f64_e64 v[94:95], v[94:95], -v[42:43]
	v_add_f64_e64 v[92:93], v[92:93], -v[40:41]
	v_add_f64_e32 v[126:127], v[126:127], v[195:196]
	v_add_f64_e64 v[195:196], v[16:17], -v[24:25]
	v_add_f64_e32 v[8:9], v[84:85], v[8:9]
	v_add_f64_e32 v[183:184], v[183:184], v[237:238]
	v_add_f64_e64 v[237:238], v[14:15], -v[6:7]
	v_add_f64_e32 v[140:141], v[140:141], v[177:178]
	v_add_f64_e64 v[177:178], v[52:53], -v[44:45]
	;; [unrolled: 2-line block ×3, first 2 shown]
	v_add_f64_e32 v[98:99], v[247:248], v[98:99]
	v_fma_f64 v[231:232], v[239:240], -0.5, v[169:170]
	v_add_f64_e64 v[239:240], v[28:29], -v[20:21]
	v_add_f64_e32 v[28:29], v[88:89], v[28:29]
	v_add_f64_e32 v[10:11], v[86:87], v[10:11]
	v_fma_f64 v[84:85], v[118:119], s[2:3], v[152:153]
	v_fma_f64 v[86:87], v[112:113], s[18:19], v[150:151]
	v_add_f64_e32 v[14:15], v[156:157], v[14:15]
	v_fma_f64 v[152:153], v[118:119], s[18:19], v[152:153]
	v_add_f64_e32 v[30:31], v[90:91], v[30:31]
	v_add_f64_e32 v[52:53], v[173:174], v[52:53]
	;; [unrolled: 1-line block ×3, first 2 shown]
	v_fma_f64 v[88:89], v[102:103], s[18:19], v[74:75]
	v_fma_f64 v[74:75], v[102:103], s[2:3], v[74:75]
	v_fma_f64 v[173:174], v[72:73], s[2:3], v[215:216]
	v_fma_f64 v[175:176], v[34:35], s[18:19], v[213:214]
	v_add_f64_e32 v[134:135], v[134:135], v[201:202]
	v_add_f64_e64 v[201:202], v[12:13], -v[4:5]
	v_add_f64_e32 v[132:133], v[132:133], v[199:200]
	v_add_f64_e64 v[199:200], v[18:19], -v[26:27]
	v_fma_f64 v[233:234], v[241:242], -0.5, v[171:172]
	v_add_f64_e32 v[136:137], v[136:137], v[235:236]
	v_add_f64_e64 v[235:236], v[40:41], -v[48:49]
	v_fma_f64 v[171:172], v[245:246], -0.5, v[171:172]
	v_add_f64_e64 v[60:61], v[60:61], -v[16:17]
	v_add_f64_e32 v[12:13], v[154:155], v[12:13]
	v_fma_f64 v[169:170], v[243:244], -0.5, v[169:170]
	v_fma_f64 v[215:216], v[72:73], s[18:19], v[215:216]
	v_fma_f64 v[156:157], v[80:81], s[18:19], v[148:149]
	v_fma_f64 v[148:149], v[80:81], s[2:3], v[148:149]
	v_add_f64_e32 v[185:186], v[185:186], v[195:196]
	v_add_f64_e64 v[195:196], v[50:51], -v[42:43]
	v_fma_f64 v[150:151], v[112:113], s[2:3], v[150:151]
	v_add_f64_e32 v[120:121], v[120:121], v[237:238]
	v_add_f64_e64 v[237:238], v[24:25], -v[16:17]
	v_add_f64_e32 v[122:123], v[122:123], v[177:178]
	v_add_f64_e64 v[177:178], v[26:27], -v[18:19]
	v_add_f64_e32 v[24:25], v[219:220], v[24:25]
	v_add_f64_e32 v[26:27], v[221:222], v[26:27]
	;; [unrolled: 1-line block ×3, first 2 shown]
	v_add_f64_e64 v[187:188], v[48:49], -v[40:41]
	v_add_f64_e32 v[48:49], v[96:97], v[48:49]
	v_fma_f64 v[96:97], v[110:111], s[18:19], v[70:71]
	v_fma_f64 v[70:71], v[110:111], s[2:3], v[70:71]
	;; [unrolled: 1-line block ×4, first 2 shown]
	v_add_f64_e32 v[138:139], v[138:139], v[239:240]
	v_add_f64_e32 v[20:21], v[28:29], v[20:21]
	v_fma_f64 v[90:91], v[104:105], s[2:3], v[144:145]
	v_fma_f64 v[154:155], v[100:101], s[2:3], v[146:147]
	;; [unrolled: 1-line block ×5, first 2 shown]
	v_add_f64_e32 v[6:7], v[14:15], v[6:7]
	v_fma_f64 v[14:15], v[36:37], s[18:19], v[58:59]
	v_add_f64_e32 v[124:125], v[124:125], v[201:202]
	v_add_f64_e64 v[201:202], v[42:43], -v[50:51]
	v_add_f64_e32 v[50:51], v[98:99], v[50:51]
	v_fma_f64 v[98:99], v[82:83], s[2:3], v[68:69]
	v_add_f64_e32 v[193:194], v[193:194], v[199:200]
	v_mul_u32_u24_e32 v199, 10, v128
	v_fma_f64 v[28:29], v[64:65], s[18:19], v[171:172]
	v_fma_f64 v[171:172], v[64:65], s[2:3], v[171:172]
	;; [unrolled: 1-line block ×4, first 2 shown]
	v_lshlrev_b32_e32 v239, 4, v199
	v_add_f64_e32 v[199:200], v[217:218], v[235:236]
	v_fma_f64 v[235:236], v[94:95], s[18:19], v[231:232]
	v_fma_f64 v[217:218], v[116:117], s[2:3], v[207:208]
	v_add_f64_e32 v[195:196], v[229:230], v[195:196]
	v_fma_f64 v[229:230], v[92:93], s[2:3], v[233:234]
	v_fma_f64 v[233:234], v[92:93], s[18:19], v[233:234]
	v_add_f64_e32 v[0:1], v[8:9], v[0:1]
	v_add_f64_e32 v[2:3], v[10:11], v[2:3]
	;; [unrolled: 1-line block ×5, first 2 shown]
	v_fma_f64 v[24:25], v[110:111], s[0:1], v[84:85]
	v_fma_f64 v[26:27], v[82:83], s[16:17], v[86:87]
	v_add_f64_e32 v[48:49], v[48:49], v[40:41]
	v_fma_f64 v[40:41], v[118:119], s[0:1], v[96:97]
	v_fma_f64 v[211:212], v[114:115], s[18:19], v[203:204]
	v_add_f64_e32 v[22:23], v[30:31], v[22:23]
	v_fma_f64 v[30:31], v[62:63], s[2:3], v[169:170]
	v_add_f64_e32 v[44:45], v[52:53], v[44:45]
	v_fma_f64 v[52:53], v[100:101], s[16:17], v[88:89]
	v_fma_f64 v[74:75], v[100:101], s[0:1], v[74:75]
	;; [unrolled: 1-line block ×5, first 2 shown]
	v_add_f64_e32 v[4:5], v[12:13], v[4:5]
	v_fma_f64 v[66:67], v[38:39], s[2:3], v[66:67]
	v_fma_f64 v[158:159], v[60:61], s[18:19], v[158:159]
	;; [unrolled: 1-line block ×4, first 2 shown]
	v_add_f64_e32 v[50:51], v[50:51], v[42:43]
	v_fma_f64 v[42:43], v[118:119], s[16:17], v[70:71]
	v_fma_f64 v[70:71], v[110:111], s[16:17], v[152:153]
	;; [unrolled: 1-line block ×5, first 2 shown]
	v_add_f64_e32 v[46:47], v[54:55], v[46:47]
	v_fma_f64 v[72:73], v[72:73], s[16:17], v[167:168]
	v_fma_f64 v[213:214], v[34:35], s[2:3], v[213:214]
	;; [unrolled: 1-line block ×3, first 2 shown]
	v_add_f64_e32 v[201:202], v[227:228], v[201:202]
	v_fma_f64 v[96:97], v[104:105], s[16:17], v[148:149]
	v_fma_f64 v[82:83], v[82:83], s[0:1], v[150:151]
	;; [unrolled: 1-line block ×26, first 2 shown]
	v_add_f64_e32 v[24:25], v[0:1], v[20:21]
	v_add_f64_e32 v[26:27], v[2:3], v[22:23]
	v_fma_f64 v[140:141], v[140:141], s[6:7], v[42:43]
	v_fma_f64 v[70:71], v[197:198], s[6:7], v[70:71]
	v_add_f64_e64 v[28:29], v[0:1], -v[20:21]
	v_add_f64_e64 v[30:31], v[2:3], -v[22:23]
	v_fma_f64 v[20:21], v[136:137], s[6:7], v[98:99]
	v_fma_f64 v[22:23], v[132:133], s[6:7], v[100:101]
	v_add_f64_e32 v[187:188], v[223:224], v[187:188]
	v_fma_f64 v[223:224], v[106:107], s[2:3], v[205:206]
	v_fma_f64 v[112:113], v[34:35], s[16:17], v[221:222]
	;; [unrolled: 1-line block ×6, first 2 shown]
	v_add_f64_e32 v[32:33], v[4:5], v[44:45]
	v_add_f64_e64 v[36:37], v[4:5], -v[44:45]
	v_fma_f64 v[4:5], v[181:182], s[6:7], v[110:111]
	v_fma_f64 v[205:206], v[106:107], s[18:19], v[205:206]
	v_fma_f64 v[12:13], v[38:39], s[16:17], v[12:13]
	v_fma_f64 v[167:168], v[38:39], s[0:1], v[225:226]
	v_add_f64_e32 v[34:35], v[6:7], v[46:47]
	v_add_f64_e64 v[38:39], v[6:7], -v[46:47]
	v_fma_f64 v[6:7], v[181:182], s[6:7], v[72:73]
	v_fma_f64 v[203:204], v[114:115], s[2:3], v[203:204]
	;; [unrolled: 1-line block ×4, first 2 shown]
	v_add_f64_e32 v[42:43], v[18:19], v[50:51]
	v_add_f64_e64 v[2:3], v[18:19], -v[50:51]
	v_fma_f64 v[18:19], v[136:137], s[6:7], v[78:79]
	v_fma_f64 v[44:45], v[201:202], s[6:7], v[148:149]
	v_fma_f64 v[46:47], v[199:200], s[6:7], v[150:151]
	v_add_f64_e32 v[40:41], v[16:17], v[48:49]
	v_add_f64_e64 v[0:1], v[16:17], -v[48:49]
	v_fma_f64 v[48:49], v[195:196], s[6:7], v[152:153]
	v_fma_f64 v[94:95], v[94:95], s[0:1], v[169:170]
	;; [unrolled: 1-line block ×9, first 2 shown]
	v_mul_f64_e32 v[84:85], s[16:17], v[156:157]
	v_mul_f64_e32 v[86:87], s[0:1], v[165:166]
	;; [unrolled: 1-line block ×4, first 2 shown]
	v_fma_f64 v[80:81], v[80:81], s[16:17], v[144:145]
	v_fma_f64 v[144:145], v[116:117], s[0:1], v[227:228]
	;; [unrolled: 1-line block ×8, first 2 shown]
	v_mul_f64_e32 v[56:57], s[18:19], v[140:141]
	v_mul_f64_e32 v[96:97], s[12:13], v[140:141]
	v_fma_f64 v[82:83], v[189:190], s[6:7], v[82:83]
	v_mul_f64_e32 v[98:99], s[16:17], v[70:71]
	v_mul_f64_e32 v[70:71], s[10:11], v[70:71]
	v_fma_f64 v[100:101], v[142:143], s[6:7], v[102:103]
	v_fma_f64 v[102:103], v[126:127], s[6:7], v[104:105]
	v_mul_f64_e32 v[104:105], s[16:17], v[20:21]
	v_mul_f64_e32 v[110:111], s[0:1], v[22:23]
	v_fma_f64 v[118:119], v[114:115], s[16:17], v[223:224]
	;; [unrolled: 4-line block ×4, first 2 shown]
	v_fma_f64 v[108:109], v[108:109], s[16:17], v[207:208]
	v_fma_f64 v[76:77], v[132:133], s[6:7], v[76:77]
	v_mul_f64_e32 v[138:139], s[16:17], v[18:19]
	v_mul_f64_e32 v[18:19], s[10:11], v[18:19]
	;; [unrolled: 1-line block ×4, first 2 shown]
	v_add_f64_e32 v[191:192], v[191:192], v[237:238]
	v_fma_f64 v[132:133], v[187:188], s[6:7], v[154:155]
	v_mul_f64_e32 v[148:149], s[18:19], v[48:49]
	v_mul_f64_e32 v[48:49], s[6:7], v[48:49]
	v_fma_f64 v[94:95], v[187:188], s[6:7], v[94:95]
	v_mul_f64_e32 v[150:151], s[18:19], v[54:55]
	v_mul_f64_e32 v[54:55], s[12:13], v[54:55]
	;; [unrolled: 3-line block ×3, first 2 shown]
	v_fma_f64 v[84:85], v[165:166], s[14:15], v[84:85]
	v_fma_f64 v[86:87], v[156:157], s[14:15], v[86:87]
	;; [unrolled: 1-line block ×39, first 2 shown]
	v_add_f64_e32 v[44:45], v[16:17], v[84:85]
	v_add_f64_e32 v[46:47], v[50:51], v[86:87]
	;; [unrolled: 1-line block ×4, first 2 shown]
	v_add_f64_e64 v[58:59], v[78:79], -v[60:61]
	v_add_f64_e32 v[60:61], v[88:89], v[120:121]
	v_add_f64_e32 v[62:63], v[90:91], v[68:69]
	v_add_f64_e64 v[66:67], v[90:91], -v[68:69]
	v_add_f64_e32 v[68:69], v[74:75], v[96:97]
	v_add_f64_e32 v[70:71], v[80:81], v[82:83]
	v_add_f64_e64 v[48:49], v[16:17], -v[84:85]
	v_add_f64_e64 v[50:51], v[50:51], -v[86:87]
	;; [unrolled: 1-line block ×6, first 2 shown]
	v_add_f64_e32 v[76:77], v[100:101], v[22:23]
	v_add_f64_e32 v[78:79], v[102:103], v[20:21]
	;; [unrolled: 1-line block ×6, first 2 shown]
	v_add_f64_e64 v[80:81], v[100:101], -v[22:23]
	v_add_f64_e64 v[82:83], v[102:103], -v[20:21]
	v_add_f64_e32 v[100:101], v[106:107], v[110:111]
	v_add_f64_e32 v[102:103], v[108:109], v[18:19]
	v_add_f64_e64 v[88:89], v[118:119], -v[98:99]
	v_add_f64_e64 v[90:91], v[144:145], -v[4:5]
	;; [unrolled: 1-line block ×6, first 2 shown]
	v_add_f64_e32 v[108:109], v[8:9], v[112:113]
	v_add_f64_e32 v[110:111], v[10:11], v[136:137]
	v_add_f64_e64 v[8:9], v[8:9], -v[112:113]
	v_add_f64_e32 v[112:113], v[12:13], v[138:139]
	v_add_f64_e32 v[114:115], v[14:15], v[132:133]
	;; [unrolled: 1-line block ×6, first 2 shown]
	v_add_f64_e64 v[10:11], v[10:11], -v[136:137]
	v_add_f64_e64 v[12:13], v[12:13], -v[138:139]
	;; [unrolled: 1-line block ×7, first 2 shown]
	v_add3_u32 v120, 0, v239, v164
	global_wb scope:SCOPE_SE
	s_barrier_signal -1
	s_barrier_wait -1
	global_inv scope:SCOPE_SE
	ds_store_b128 v120, v[24:27]
	ds_store_b128 v120, v[44:47] offset:16
	ds_store_b128 v120, v[52:55] offset:32
	;; [unrolled: 1-line block ×29, first 2 shown]
	global_wb scope:SCOPE_SE
	s_wait_dscnt 0x0
	s_barrier_signal -1
	s_barrier_wait -1
	global_inv scope:SCOPE_SE
	ds_load_b128 v[40:43], v162
	ds_load_b128 v[36:39], v129 offset:256
	ds_load_b128 v[120:123], v129 offset:1920
	;; [unrolled: 1-line block ×23, first 2 shown]
	v_cmp_gt_u32_e64 s0, 12, v128
                                        ; implicit-def: $vgpr26_vgpr27
                                        ; implicit-def: $vgpr30_vgpr31
	s_delay_alu instid0(VALU_DEP_1)
	s_and_saveexec_b32 s1, s0
	s_cbranch_execz .LBB0_19
; %bb.18:
	ds_load_b128 v[4:7], v129 offset:768
	ds_load_b128 v[0:3], v129 offset:1728
	;; [unrolled: 1-line block ×8, first 2 shown]
.LBB0_19:
	s_wait_alu 0xfffe
	s_or_b32 exec_lo, exec_lo, s1
	v_dual_mov_b32 v133, 0 :: v_dual_add_nc_u32 v132, -10, v128
	v_cmp_gt_u32_e64 s1, 10, v128
	s_mov_b32 s6, 0x667f3bcd
	s_mov_b32 s7, 0xbfe6a09e
	;; [unrolled: 1-line block ×3, first 2 shown]
	s_wait_alu 0xfffe
	s_mov_b32 s2, s6
	v_cndmask_b32_e64 v134, v132, v128, s1
	s_delay_alu instid0(VALU_DEP_1) | instskip(NEXT) | instid1(VALU_DEP_1)
	v_mul_i32_i24_e32 v132, 7, v134
	v_lshlrev_b64_e32 v[132:133], 4, v[132:133]
	s_delay_alu instid0(VALU_DEP_1) | instskip(SKIP_1) | instid1(VALU_DEP_2)
	v_add_co_u32 v143, s1, s4, v132
	s_wait_alu 0xf1ff
	v_add_co_ci_u32_e64 v144, s1, s5, v133, s1
	v_cmp_lt_u32_e64 s1, 9, v128
	s_clause 0x1
	global_load_b128 v[135:138], v[143:144], off
	global_load_b128 v[139:142], v[143:144], off offset:16
	s_wait_loadcnt_dscnt 0x10f
	v_mul_f64_e32 v[132:133], v[126:127], v[137:138]
	s_delay_alu instid0(VALU_DEP_1) | instskip(SKIP_1) | instid1(VALU_DEP_1)
	v_fma_f64 v[132:133], v[124:125], v[135:136], v[132:133]
	v_mul_f64_e32 v[124:125], v[124:125], v[137:138]
	v_fma_f64 v[124:125], v[126:127], v[135:136], -v[124:125]
	s_wait_loadcnt 0x0
	v_mul_f64_e32 v[126:127], v[122:123], v[141:142]
	s_delay_alu instid0(VALU_DEP_1) | instskip(SKIP_1) | instid1(VALU_DEP_1)
	v_fma_f64 v[126:127], v[120:121], v[139:140], v[126:127]
	v_mul_f64_e32 v[120:121], v[120:121], v[141:142]
	v_fma_f64 v[120:121], v[122:123], v[139:140], -v[120:121]
	s_clause 0x1
	global_load_b128 v[135:138], v[143:144], off offset:32
	global_load_b128 v[139:142], v[143:144], off offset:48
	s_wait_loadcnt_dscnt 0x10b
	v_mul_f64_e32 v[122:123], v[118:119], v[137:138]
	s_delay_alu instid0(VALU_DEP_1) | instskip(SKIP_1) | instid1(VALU_DEP_1)
	v_fma_f64 v[122:123], v[116:117], v[135:136], v[122:123]
	v_mul_f64_e32 v[116:117], v[116:117], v[137:138]
	v_fma_f64 v[116:117], v[118:119], v[135:136], -v[116:117]
	s_wait_loadcnt 0x0
	v_mul_f64_e32 v[118:119], v[110:111], v[141:142]
	s_delay_alu instid0(VALU_DEP_1) | instskip(SKIP_1) | instid1(VALU_DEP_1)
	v_fma_f64 v[118:119], v[108:109], v[139:140], v[118:119]
	v_mul_f64_e32 v[108:109], v[108:109], v[141:142]
	v_fma_f64 v[139:140], v[110:111], v[139:140], -v[108:109]
	s_clause 0x1
	global_load_b128 v[108:111], v[143:144], off offset:64
	global_load_b128 v[135:138], v[143:144], off offset:80
	s_wait_loadcnt_dscnt 0x107
	v_mul_f64_e32 v[141:142], v[114:115], v[110:111]
	v_mul_f64_e32 v[110:111], v[112:113], v[110:111]
	s_delay_alu instid0(VALU_DEP_2) | instskip(NEXT) | instid1(VALU_DEP_2)
	v_fma_f64 v[141:142], v[112:113], v[108:109], v[141:142]
	v_fma_f64 v[114:115], v[114:115], v[108:109], -v[110:111]
	s_wait_loadcnt 0x0
	v_mul_f64_e32 v[108:109], v[106:107], v[137:138]
	s_delay_alu instid0(VALU_DEP_2) | instskip(NEXT) | instid1(VALU_DEP_2)
	v_add_f64_e64 v[114:115], v[124:125], -v[114:115]
	v_fma_f64 v[145:146], v[104:105], v[135:136], v[108:109]
	v_mul_f64_e32 v[104:105], v[104:105], v[137:138]
	s_delay_alu instid0(VALU_DEP_3) | instskip(NEXT) | instid1(VALU_DEP_2)
	v_fma_f64 v[124:125], v[124:125], 2.0, -v[114:115]
	v_fma_f64 v[147:148], v[106:107], v[135:136], -v[104:105]
	v_or_b32_e32 v105, 16, v128
	s_delay_alu instid0(VALU_DEP_1) | instskip(NEXT) | instid1(VALU_DEP_1)
	v_mul_lo_u16 v104, v105, 26
	v_lshrrev_b16 v104, 8, v104
	s_delay_alu instid0(VALU_DEP_1) | instskip(NEXT) | instid1(VALU_DEP_1)
	v_mul_lo_u16 v106, v104, 10
	v_sub_nc_u16 v105, v105, v106
	s_delay_alu instid0(VALU_DEP_1) | instskip(NEXT) | instid1(VALU_DEP_1)
	v_mul_lo_u16 v106, v105, 7
	v_and_b32_e32 v106, 0xff, v106
	s_delay_alu instid0(VALU_DEP_1)
	v_lshlrev_b32_e32 v137, 4, v106
	s_clause 0x1
	global_load_b128 v[106:109], v[143:144], off offset:96
	global_load_b128 v[110:113], v137, s[4:5]
	s_wait_loadcnt_dscnt 0x103
	v_mul_f64_e32 v[135:136], v[102:103], v[108:109]
	s_delay_alu instid0(VALU_DEP_1) | instskip(SKIP_1) | instid1(VALU_DEP_1)
	v_fma_f64 v[143:144], v[100:101], v[106:107], v[135:136]
	v_mul_f64_e32 v[100:101], v[100:101], v[108:109]
	v_fma_f64 v[149:150], v[102:103], v[106:107], -v[100:101]
	s_wait_loadcnt 0x0
	v_mul_f64_e32 v[100:101], v[98:99], v[112:113]
	s_delay_alu instid0(VALU_DEP_1) | instskip(SKIP_1) | instid1(VALU_DEP_1)
	v_fma_f64 v[100:101], v[96:97], v[110:111], v[100:101]
	v_mul_f64_e32 v[96:97], v[96:97], v[112:113]
	v_fma_f64 v[96:97], v[98:99], v[110:111], -v[96:97]
	s_clause 0x1
	global_load_b128 v[106:109], v137, s[4:5] offset:16
	global_load_b128 v[110:113], v137, s[4:5] offset:32
	s_wait_loadcnt 0x1
	v_mul_f64_e32 v[98:99], v[90:91], v[108:109]
	s_delay_alu instid0(VALU_DEP_1) | instskip(SKIP_1) | instid1(VALU_DEP_1)
	v_fma_f64 v[98:99], v[88:89], v[106:107], v[98:99]
	v_mul_f64_e32 v[88:89], v[88:89], v[108:109]
	v_fma_f64 v[90:91], v[90:91], v[106:107], -v[88:89]
	s_wait_loadcnt 0x0
	v_mul_f64_e32 v[88:89], v[94:95], v[112:113]
	s_delay_alu instid0(VALU_DEP_1) | instskip(SKIP_1) | instid1(VALU_DEP_1)
	v_fma_f64 v[88:89], v[92:93], v[110:111], v[88:89]
	v_mul_f64_e32 v[92:93], v[92:93], v[112:113]
	v_fma_f64 v[92:93], v[94:95], v[110:111], -v[92:93]
	s_clause 0x1
	global_load_b128 v[106:109], v137, s[4:5] offset:48
	global_load_b128 v[110:113], v137, s[4:5] offset:64
	s_wait_loadcnt 0x1
	v_mul_f64_e32 v[94:95], v[86:87], v[108:109]
	s_delay_alu instid0(VALU_DEP_1) | instskip(SKIP_1) | instid1(VALU_DEP_1)
	v_fma_f64 v[94:95], v[84:85], v[106:107], v[94:95]
	v_mul_f64_e32 v[84:85], v[84:85], v[108:109]
	v_fma_f64 v[84:85], v[86:87], v[106:107], -v[84:85]
	s_clause 0x1
	global_load_b128 v[106:109], v137, s[4:5] offset:80
	global_load_b128 v[135:138], v137, s[4:5] offset:96
	s_wait_loadcnt 0x1
	v_mul_f64_e32 v[86:87], v[74:75], v[108:109]
	s_delay_alu instid0(VALU_DEP_1) | instskip(SKIP_1) | instid1(VALU_DEP_2)
	v_fma_f64 v[86:87], v[72:73], v[106:107], v[86:87]
	v_mul_f64_e32 v[72:73], v[72:73], v[108:109]
	v_add_f64_e64 v[86:87], v[98:99], -v[86:87]
	s_delay_alu instid0(VALU_DEP_2) | instskip(SKIP_1) | instid1(VALU_DEP_2)
	v_fma_f64 v[74:75], v[74:75], v[106:107], -v[72:73]
	v_mul_f64_e32 v[72:73], v[78:79], v[112:113]
	v_add_f64_e64 v[74:75], v[90:91], -v[74:75]
	s_delay_alu instid0(VALU_DEP_2) | instskip(SKIP_1) | instid1(VALU_DEP_1)
	v_fma_f64 v[102:103], v[76:77], v[110:111], v[72:73]
	v_mul_f64_e32 v[72:73], v[76:77], v[112:113]
	v_fma_f64 v[76:77], v[78:79], v[110:111], -v[72:73]
	s_wait_loadcnt_dscnt 0x1
	v_mul_f64_e32 v[72:73], v[82:83], v[137:138]
	s_delay_alu instid0(VALU_DEP_2) | instskip(NEXT) | instid1(VALU_DEP_2)
	v_add_f64_e64 v[76:77], v[96:97], -v[76:77]
	v_fma_f64 v[78:79], v[80:81], v[135:136], v[72:73]
	v_mul_f64_e32 v[72:73], v[80:81], v[137:138]
	s_delay_alu instid0(VALU_DEP_2) | instskip(NEXT) | instid1(VALU_DEP_2)
	v_add_f64_e64 v[78:79], v[88:89], -v[78:79]
	v_fma_f64 v[80:81], v[82:83], v[135:136], -v[72:73]
	v_or_b32_e32 v72, 32, v128
	s_delay_alu instid0(VALU_DEP_1) | instskip(NEXT) | instid1(VALU_DEP_1)
	v_mul_lo_u16 v73, v72, 26
	v_lshrrev_b16 v82, 8, v73
	s_delay_alu instid0(VALU_DEP_1) | instskip(NEXT) | instid1(VALU_DEP_1)
	v_mul_lo_u16 v73, v82, 10
	v_sub_nc_u16 v72, v72, v73
	s_delay_alu instid0(VALU_DEP_1) | instskip(NEXT) | instid1(VALU_DEP_1)
	v_and_b32_e32 v83, 0xff, v72
	v_mul_u32_u24_e32 v72, 7, v83
	s_delay_alu instid0(VALU_DEP_1)
	v_lshlrev_b32_e32 v151, 4, v72
	s_clause 0x1
	global_load_b128 v[106:109], v151, s[4:5]
	global_load_b128 v[110:113], v151, s[4:5] offset:16
	v_add_f64_e64 v[80:81], v[92:93], -v[80:81]
	s_wait_loadcnt 0x1
	v_mul_f64_e32 v[72:73], v[70:71], v[108:109]
	s_delay_alu instid0(VALU_DEP_1) | instskip(SKIP_1) | instid1(VALU_DEP_1)
	v_fma_f64 v[72:73], v[68:69], v[106:107], v[72:73]
	v_mul_f64_e32 v[68:69], v[68:69], v[108:109]
	v_fma_f64 v[68:69], v[70:71], v[106:107], -v[68:69]
	s_wait_loadcnt 0x0
	v_mul_f64_e32 v[70:71], v[66:67], v[112:113]
	s_delay_alu instid0(VALU_DEP_1) | instskip(SKIP_1) | instid1(VALU_DEP_1)
	v_fma_f64 v[70:71], v[64:65], v[110:111], v[70:71]
	v_mul_f64_e32 v[64:65], v[64:65], v[112:113]
	v_fma_f64 v[64:65], v[66:67], v[110:111], -v[64:65]
	s_clause 0x1
	global_load_b128 v[106:109], v151, s[4:5] offset:48
	global_load_b128 v[110:113], v151, s[4:5] offset:32
	s_wait_loadcnt 0x1
	v_mul_f64_e32 v[66:67], v[62:63], v[108:109]
	s_delay_alu instid0(VALU_DEP_1) | instskip(SKIP_1) | instid1(VALU_DEP_2)
	v_fma_f64 v[66:67], v[60:61], v[106:107], v[66:67]
	v_mul_f64_e32 v[60:61], v[60:61], v[108:109]
	v_add_f64_e64 v[66:67], v[32:33], -v[66:67]
	s_delay_alu instid0(VALU_DEP_2)
	v_fma_f64 v[60:61], v[62:63], v[106:107], -v[60:61]
	s_clause 0x1
	global_load_b128 v[106:109], v151, s[4:5] offset:80
	global_load_b128 v[135:138], v151, s[4:5] offset:64
	v_add_f64_e64 v[60:61], v[34:35], -v[60:61]
	s_wait_loadcnt 0x1
	v_mul_f64_e32 v[62:63], v[58:59], v[108:109]
	s_delay_alu instid0(VALU_DEP_1) | instskip(SKIP_1) | instid1(VALU_DEP_2)
	v_fma_f64 v[62:63], v[56:57], v[106:107], v[62:63]
	v_mul_f64_e32 v[56:57], v[56:57], v[108:109]
	v_add_f64_e64 v[62:63], v[70:71], -v[62:63]
	s_delay_alu instid0(VALU_DEP_2)
	v_fma_f64 v[56:57], v[58:59], v[106:107], -v[56:57]
	global_load_b128 v[106:109], v151, s[4:5] offset:96
	s_wait_loadcnt 0x1
	v_mul_f64_e32 v[58:59], v[54:55], v[137:138]
	global_wb scope:SCOPE_SE
	s_wait_loadcnt_dscnt 0x0
	s_barrier_signal -1
	s_barrier_wait -1
	global_inv scope:SCOPE_SE
	v_fma_f64 v[58:59], v[52:53], v[135:136], v[58:59]
	v_mul_f64_e32 v[52:53], v[52:53], v[137:138]
	v_add_f64_e64 v[137:138], v[132:133], -v[141:142]
	v_add_f64_e64 v[141:142], v[122:123], -v[143:144]
	s_delay_alu instid0(VALU_DEP_3) | instskip(SKIP_1) | instid1(VALU_DEP_1)
	v_fma_f64 v[54:55], v[54:55], v[135:136], -v[52:53]
	v_mul_f64_e32 v[52:53], v[46:47], v[112:113]
	v_fma_f64 v[52:53], v[44:45], v[110:111], v[52:53]
	v_mul_f64_e32 v[44:45], v[44:45], v[112:113]
	v_add_f64_e64 v[112:113], v[120:121], -v[147:148]
	v_add_f64_e64 v[147:148], v[114:115], -v[141:142]
	s_delay_alu instid0(VALU_DEP_3) | instskip(SKIP_2) | instid1(VALU_DEP_1)
	v_fma_f64 v[44:45], v[46:47], v[110:111], -v[44:45]
	v_add_f64_e64 v[110:111], v[126:127], -v[145:146]
	v_mul_f64_e32 v[46:47], v[50:51], v[108:109]
	v_fma_f64 v[46:47], v[48:49], v[106:107], v[46:47]
	v_mul_f64_e32 v[48:49], v[48:49], v[108:109]
	s_delay_alu instid0(VALU_DEP_1) | instskip(SKIP_3) | instid1(VALU_DEP_3)
	v_fma_f64 v[48:49], v[50:51], v[106:107], -v[48:49]
	v_add_f64_e64 v[106:107], v[42:43], -v[139:140]
	v_add_f64_e64 v[50:51], v[40:41], -v[118:119]
	;; [unrolled: 1-line block ×4, first 2 shown]
	s_delay_alu instid0(VALU_DEP_3)
	v_fma_f64 v[118:119], v[40:41], 2.0, -v[50:51]
	v_fma_f64 v[135:136], v[42:43], 2.0, -v[106:107]
	v_add_f64_e32 v[143:144], v[50:51], v[112:113]
	v_add_f64_e32 v[108:109], v[137:138], v[139:140]
	v_fma_f64 v[110:111], v[126:127], 2.0, -v[110:111]
	v_fma_f64 v[112:113], v[120:121], 2.0, -v[112:113]
	;; [unrolled: 1-line block ×3, first 2 shown]
	s_wait_alu 0xfffe
	v_fma_f64 v[42:43], v[147:148], s[2:3], v[145:146]
	v_fma_f64 v[149:150], v[106:107], 2.0, -v[145:146]
	v_fma_f64 v[106:107], v[114:115], 2.0, -v[147:148]
	;; [unrolled: 1-line block ×4, first 2 shown]
	s_wait_alu 0xf1ff
	v_cndmask_b32_e64 v122, 0, 0x50, s1
	v_fma_f64 v[40:41], v[108:109], s[2:3], v[143:144]
	v_add_f64_e64 v[126:127], v[135:136], -v[112:113]
	v_fma_f64 v[50:51], v[50:51], 2.0, -v[143:144]
	s_delay_alu instid0(VALU_DEP_4)
	v_or_b32_e32 v134, v122, v134
	v_add_f64_e64 v[122:123], v[118:119], -v[110:111]
	v_fma_f64 v[42:43], v[108:109], s[6:7], v[42:43]
	v_fma_f64 v[108:109], v[137:138], 2.0, -v[108:109]
	v_fma_f64 v[151:152], v[106:107], s[6:7], v[149:150]
	v_add_f64_e64 v[132:133], v[124:125], -v[114:115]
	v_add_f64_e64 v[137:138], v[120:121], -v[116:117]
	v_lshlrev_b32_e32 v114, 4, v134
	v_fma_f64 v[40:41], v[147:148], s[2:3], v[40:41]
	s_delay_alu instid0(VALU_DEP_2) | instskip(SKIP_4) | instid1(VALU_DEP_4)
	v_add3_u32 v134, 0, v114, v164
	v_fma_f64 v[147:148], v[108:109], s[6:7], v[50:51]
	v_fma_f64 v[108:109], v[108:109], s[6:7], v[151:152]
	v_add_f64_e32 v[110:111], v[122:123], v[132:133]
	v_add_f64_e64 v[112:113], v[126:127], -v[137:138]
	v_fma_f64 v[106:107], v[106:107], s[2:3], v[147:148]
	s_delay_alu instid0(VALU_DEP_3) | instskip(NEXT) | instid1(VALU_DEP_3)
	v_fma_f64 v[114:115], v[122:123], 2.0, -v[110:111]
	v_fma_f64 v[116:117], v[126:127], 2.0, -v[112:113]
	ds_store_b128 v134, v[110:113] offset:960
	v_fma_f64 v[110:111], v[143:144], 2.0, -v[40:41]
	v_fma_f64 v[112:113], v[145:146], 2.0, -v[42:43]
	ds_store_b128 v134, v[40:43] offset:1120
	ds_store_b128 v134, v[114:117] offset:320
	;; [unrolled: 1-line block ×3, first 2 shown]
	v_fma_f64 v[110:111], v[118:119], 2.0, -v[122:123]
	v_fma_f64 v[112:113], v[135:136], 2.0, -v[126:127]
	;; [unrolled: 1-line block ×4, first 2 shown]
	v_add_f64_e64 v[120:121], v[68:69], -v[54:55]
	v_add_f64_e64 v[124:125], v[52:53], -v[46:47]
	;; [unrolled: 1-line block ×6, first 2 shown]
	v_fma_f64 v[58:59], v[98:99], 2.0, -v[86:87]
	v_add_f64_e64 v[40:41], v[110:111], -v[40:41]
	v_add_f64_e64 v[42:43], v[112:113], -v[42:43]
	;; [unrolled: 1-line block ×3, first 2 shown]
	v_add_f64_e32 v[126:127], v[66:67], v[116:117]
	v_add_f64_e32 v[46:47], v[118:119], v[122:123]
	v_fma_f64 v[44:45], v[44:45], 2.0, -v[122:123]
	v_fma_f64 v[110:111], v[110:111], 2.0, -v[40:41]
	;; [unrolled: 1-line block ×3, first 2 shown]
	ds_store_b128 v134, v[40:43] offset:640
	v_fma_f64 v[40:41], v[50:51], 2.0, -v[106:107]
	v_fma_f64 v[42:43], v[149:150], 2.0, -v[108:109]
	ds_store_b128 v134, v[106:109] offset:800
	ds_store_b128 v134, v[110:113]
	ds_store_b128 v134, v[40:43] offset:160
	v_add_f64_e64 v[40:41], v[36:37], -v[94:95]
	v_add_f64_e64 v[42:43], v[38:39], -v[84:85]
	;; [unrolled: 1-line block ×4, first 2 shown]
	v_fma_f64 v[134:135], v[60:61], 2.0, -v[132:133]
	v_fma_f64 v[54:55], v[118:119], 2.0, -v[46:47]
	v_add_f64_e32 v[102:103], v[40:41], v[74:75]
	v_add_f64_e64 v[106:107], v[42:43], -v[86:87]
	v_add_f64_e32 v[108:109], v[94:95], v[80:81]
	v_fma_f64 v[50:51], v[36:37], 2.0, -v[40:41]
	v_fma_f64 v[84:85], v[38:39], 2.0, -v[42:43]
	;; [unrolled: 1-line block ×5, first 2 shown]
	v_fma_f64 v[36:37], v[108:109], s[2:3], v[102:103]
	v_fma_f64 v[40:41], v[76:77], 2.0, -v[110:111]
	v_fma_f64 v[38:39], v[110:111], s[2:3], v[106:107]
	v_fma_f64 v[42:43], v[94:95], 2.0, -v[108:109]
	s_delay_alu instid0(VALU_DEP_4) | instskip(NEXT) | instid1(VALU_DEP_4)
	v_fma_f64 v[36:37], v[110:111], s[2:3], v[36:37]
	v_fma_f64 v[110:111], v[40:41], s[6:7], v[114:115]
	s_delay_alu instid0(VALU_DEP_4) | instskip(NEXT) | instid1(VALU_DEP_4)
	v_fma_f64 v[38:39], v[108:109], s[6:7], v[38:39]
	v_fma_f64 v[108:109], v[42:43], s[6:7], v[112:113]
	s_delay_alu instid0(VALU_DEP_3)
	v_fma_f64 v[42:43], v[42:43], s[6:7], v[110:111]
	v_fma_f64 v[110:111], v[34:35], 2.0, -v[60:61]
	v_fma_f64 v[60:61], v[90:91], 2.0, -v[74:75]
	;; [unrolled: 1-line block ×5, first 2 shown]
	v_fma_f64 v[34:35], v[48:49], s[2:3], v[132:133]
	v_mul_lo_u16 v78, 0x50, v104
	v_fma_f64 v[40:41], v[40:41], s[2:3], v[108:109]
	v_fma_f64 v[108:109], v[32:33], 2.0, -v[66:67]
	v_fma_f64 v[32:33], v[46:47], s[2:3], v[126:127]
	v_fma_f64 v[66:67], v[66:67], 2.0, -v[126:127]
	v_or_b32_e32 v94, v78, v105
	v_add_f64_e64 v[78:79], v[50:51], -v[58:59]
	s_delay_alu instid0(VALU_DEP_2) | instskip(NEXT) | instid1(VALU_DEP_1)
	v_and_b32_e32 v94, 0xff, v94
	v_lshlrev_b32_e32 v94, 4, v94
	s_delay_alu instid0(VALU_DEP_1)
	v_add3_u32 v94, 0, v94, v164
	v_add_f64_e64 v[80:81], v[84:85], -v[60:61]
	v_add_f64_e64 v[88:89], v[90:91], -v[74:75]
	;; [unrolled: 1-line block ×3, first 2 shown]
	v_fma_f64 v[34:35], v[46:47], s[6:7], v[34:35]
	v_fma_f64 v[46:47], v[120:121], 2.0, -v[48:49]
	v_fma_f64 v[32:33], v[48:49], s[2:3], v[32:33]
	v_fma_f64 v[48:49], v[54:55], s[6:7], v[66:67]
	v_fma_f64 v[50:51], v[50:51], 2.0, -v[78:79]
	v_add_f64_e32 v[58:59], v[78:79], v[88:89]
	v_add_f64_e64 v[60:61], v[80:81], -v[92:93]
	v_fma_f64 v[56:57], v[46:47], s[6:7], v[134:135]
	v_fma_f64 v[46:47], v[46:47], s[2:3], v[48:49]
	s_delay_alu instid0(VALU_DEP_4) | instskip(NEXT) | instid1(VALU_DEP_4)
	v_fma_f64 v[74:75], v[78:79], 2.0, -v[58:59]
	v_fma_f64 v[76:77], v[80:81], 2.0, -v[60:61]
	s_delay_alu instid0(VALU_DEP_4)
	v_fma_f64 v[48:49], v[54:55], s[6:7], v[56:57]
	v_fma_f64 v[54:55], v[102:103], 2.0, -v[36:37]
	v_fma_f64 v[56:57], v[106:107], 2.0, -v[38:39]
	ds_store_b128 v94, v[74:77] offset:320
	ds_store_b128 v94, v[54:57] offset:480
	v_fma_f64 v[76:77], v[84:85], 2.0, -v[80:81]
	v_fma_f64 v[54:55], v[86:87], 2.0, -v[92:93]
	;; [unrolled: 1-line block ×3, first 2 shown]
	s_delay_alu instid0(VALU_DEP_2) | instskip(NEXT) | instid1(VALU_DEP_2)
	v_add_f64_e64 v[54:55], v[50:51], -v[54:55]
	v_add_f64_e64 v[56:57], v[76:77], -v[56:57]
	s_delay_alu instid0(VALU_DEP_2) | instskip(NEXT) | instid1(VALU_DEP_2)
	v_fma_f64 v[74:75], v[50:51], 2.0, -v[54:55]
	v_fma_f64 v[76:77], v[76:77], 2.0, -v[56:57]
	ds_store_b128 v94, v[54:57] offset:640
	v_fma_f64 v[54:55], v[112:113], 2.0, -v[40:41]
	v_fma_f64 v[56:57], v[114:115], 2.0, -v[42:43]
	ds_store_b128 v94, v[40:43] offset:800
	ds_store_b128 v94, v[58:61] offset:960
	;; [unrolled: 1-line block ×3, first 2 shown]
	ds_store_b128 v94, v[74:77]
	v_fma_f64 v[36:37], v[70:71], 2.0, -v[62:63]
	v_fma_f64 v[38:39], v[64:65], 2.0, -v[116:117]
	;; [unrolled: 1-line block ×9, first 2 shown]
	v_add_f64_e64 v[52:53], v[108:109], -v[36:37]
	v_add_f64_e64 v[58:59], v[110:111], -v[38:39]
	;; [unrolled: 1-line block ×4, first 2 shown]
	s_delay_alu instid0(VALU_DEP_4) | instskip(NEXT) | instid1(VALU_DEP_4)
	v_fma_f64 v[44:45], v[108:109], 2.0, -v[52:53]
	v_fma_f64 v[60:61], v[110:111], 2.0, -v[58:59]
	s_delay_alu instid0(VALU_DEP_4) | instskip(NEXT) | instid1(VALU_DEP_4)
	v_fma_f64 v[42:43], v[42:43], 2.0, -v[36:37]
	v_fma_f64 v[40:41], v[40:41], 2.0, -v[38:39]
	v_add_f64_e32 v[36:37], v[52:53], v[36:37]
	v_add_f64_e64 v[38:39], v[58:59], -v[38:39]
	s_delay_alu instid0(VALU_DEP_4) | instskip(NEXT) | instid1(VALU_DEP_4)
	v_add_f64_e64 v[42:43], v[60:61], -v[42:43]
	v_add_f64_e64 v[40:41], v[44:45], -v[40:41]
	s_delay_alu instid0(VALU_DEP_4) | instskip(NEXT) | instid1(VALU_DEP_4)
	v_fma_f64 v[50:51], v[52:53], 2.0, -v[36:37]
	v_fma_f64 v[52:53], v[58:59], 2.0, -v[38:39]
	s_delay_alu instid0(VALU_DEP_4) | instskip(NEXT) | instid1(VALU_DEP_4)
	v_fma_f64 v[60:61], v[60:61], 2.0, -v[42:43]
	v_fma_f64 v[58:59], v[44:45], 2.0, -v[40:41]
	v_and_b32_e32 v44, 0xffff, v82
	s_delay_alu instid0(VALU_DEP_1) | instskip(NEXT) | instid1(VALU_DEP_1)
	v_mul_u32_u24_e32 v44, 0x50, v44
	v_or_b32_e32 v44, v44, v83
	s_delay_alu instid0(VALU_DEP_1) | instskip(NEXT) | instid1(VALU_DEP_1)
	v_lshlrev_b32_e32 v44, 4, v44
	v_add3_u32 v44, 0, v44, v164
	ds_store_b128 v94, v[54:57] offset:160
	ds_store_b128 v44, v[58:61]
	ds_store_b128 v44, v[62:65] offset:160
	ds_store_b128 v44, v[50:53] offset:320
	;; [unrolled: 1-line block ×7, first 2 shown]
	s_and_saveexec_b32 s1, s0
	s_cbranch_execz .LBB0_21
; %bb.20:
	v_or_b32_e32 v32, 48, v128
	s_delay_alu instid0(VALU_DEP_1) | instskip(NEXT) | instid1(VALU_DEP_1)
	v_mul_lo_u16 v33, v32, 26
	v_lshrrev_b16 v74, 8, v33
	s_delay_alu instid0(VALU_DEP_1) | instskip(NEXT) | instid1(VALU_DEP_1)
	v_mul_lo_u16 v33, v74, 10
	v_sub_nc_u16 v32, v32, v33
	s_delay_alu instid0(VALU_DEP_1) | instskip(NEXT) | instid1(VALU_DEP_1)
	v_and_b32_e32 v75, 0xff, v32
	v_mul_u32_u24_e32 v32, 7, v75
	s_delay_alu instid0(VALU_DEP_1)
	v_lshlrev_b32_e32 v56, 4, v32
	s_clause 0x6
	global_load_b128 v[32:35], v56, s[4:5] offset:48
	global_load_b128 v[36:39], v56, s[4:5] offset:16
	;; [unrolled: 1-line block ×3, first 2 shown]
	global_load_b128 v[44:47], v56, s[4:5]
	global_load_b128 v[48:51], v56, s[4:5] offset:64
	global_load_b128 v[52:55], v56, s[4:5] offset:32
	;; [unrolled: 1-line block ×3, first 2 shown]
	s_wait_loadcnt 0x6
	v_mul_f64_e32 v[60:61], v[16:17], v[34:35]
	s_wait_loadcnt 0x5
	v_mul_f64_e32 v[62:63], v[10:11], v[38:39]
	;; [unrolled: 2-line block ×7, first 2 shown]
	v_mul_f64_e32 v[46:47], v[2:3], v[46:47]
	v_mul_f64_e32 v[38:39], v[8:9], v[38:39]
	;; [unrolled: 1-line block ×7, first 2 shown]
	v_fma_f64 v[18:19], v[18:19], v[32:33], -v[60:61]
	v_fma_f64 v[8:9], v[8:9], v[36:37], v[62:63]
	v_fma_f64 v[24:25], v[24:25], v[40:41], v[64:65]
	v_fma_f64 v[2:3], v[2:3], v[44:45], -v[66:67]
	v_fma_f64 v[22:23], v[22:23], v[48:49], -v[68:69]
	v_fma_f64 v[12:13], v[12:13], v[52:53], v[70:71]
	v_fma_f64 v[28:29], v[28:29], v[56:57], v[72:73]
	;; [unrolled: 1-line block ×3, first 2 shown]
	v_fma_f64 v[10:11], v[10:11], v[36:37], -v[38:39]
	v_fma_f64 v[26:27], v[26:27], v[40:41], -v[42:43]
	v_fma_f64 v[20:21], v[20:21], v[48:49], v[50:51]
	v_fma_f64 v[16:17], v[16:17], v[32:33], v[34:35]
	v_fma_f64 v[14:15], v[14:15], v[52:53], -v[54:55]
	v_fma_f64 v[30:31], v[30:31], v[56:57], -v[58:59]
	v_add_f64_e64 v[18:19], v[6:7], -v[18:19]
	v_add_f64_e64 v[24:25], v[8:9], -v[24:25]
	;; [unrolled: 1-line block ×8, first 2 shown]
	v_fma_f64 v[6:7], v[6:7], 2.0, -v[18:19]
	v_add_f64_e64 v[32:33], v[18:19], -v[24:25]
	v_fma_f64 v[8:9], v[8:9], 2.0, -v[24:25]
	v_fma_f64 v[2:3], v[2:3], 2.0, -v[22:23]
	v_add_f64_e64 v[34:35], v[22:23], -v[28:29]
	v_fma_f64 v[12:13], v[12:13], 2.0, -v[28:29]
	v_fma_f64 v[10:11], v[10:11], 2.0, -v[26:27]
	;; [unrolled: 1-line block ×4, first 2 shown]
	v_add_f64_e32 v[26:27], v[16:17], v[26:27]
	v_fma_f64 v[14:15], v[14:15], 2.0, -v[30:31]
	v_add_f64_e32 v[24:25], v[20:21], v[30:31]
	v_fma_f64 v[30:31], v[18:19], 2.0, -v[32:33]
	v_fma_f64 v[18:19], v[22:23], 2.0, -v[34:35]
	v_add_f64_e64 v[28:29], v[6:7], -v[10:11]
	v_add_f64_e64 v[10:11], v[0:1], -v[12:13]
	;; [unrolled: 1-line block ×3, first 2 shown]
	v_fma_f64 v[38:39], v[16:17], 2.0, -v[26:27]
	v_add_f64_e64 v[12:13], v[2:3], -v[14:15]
	v_fma_f64 v[8:9], v[20:21], 2.0, -v[24:25]
	v_fma_f64 v[14:15], v[34:35], s[2:3], v[32:33]
	v_fma_f64 v[16:17], v[24:25], s[2:3], v[26:27]
	;; [unrolled: 1-line block ×3, first 2 shown]
	v_fma_f64 v[40:41], v[6:7], 2.0, -v[28:29]
	v_fma_f64 v[44:45], v[0:1], 2.0, -v[10:11]
	;; [unrolled: 1-line block ×3, first 2 shown]
	v_add_f64_e64 v[6:7], v[28:29], -v[10:11]
	v_fma_f64 v[22:23], v[2:3], 2.0, -v[12:13]
	v_fma_f64 v[46:47], v[8:9], s[6:7], v[38:39]
	v_add_f64_e32 v[4:5], v[36:37], v[12:13]
	v_fma_f64 v[2:3], v[24:25], s[6:7], v[14:15]
	v_fma_f64 v[0:1], v[34:35], s[2:3], v[16:17]
	v_fma_f64 v[10:11], v[8:9], s[6:7], v[20:21]
	v_add_f64_e64 v[12:13], v[42:43], -v[44:45]
	v_add_f64_e64 v[14:15], v[40:41], -v[22:23]
	v_fma_f64 v[8:9], v[18:19], s[2:3], v[46:47]
	v_fma_f64 v[22:23], v[28:29], 2.0, -v[6:7]
	v_fma_f64 v[20:21], v[36:37], 2.0, -v[4:5]
	v_fma_f64 v[18:19], v[32:33], 2.0, -v[2:3]
	v_fma_f64 v[16:17], v[26:27], 2.0, -v[0:1]
	v_and_b32_e32 v32, 0xffff, v74
	s_delay_alu instid0(VALU_DEP_1) | instskip(NEXT) | instid1(VALU_DEP_1)
	v_mul_u32_u24_e32 v32, 0x50, v32
	v_or_b32_e32 v32, v32, v75
	s_delay_alu instid0(VALU_DEP_1) | instskip(NEXT) | instid1(VALU_DEP_1)
	v_lshlrev_b32_e32 v32, 4, v32
	v_add3_u32 v32, 0, v32, v164
	v_fma_f64 v[26:27], v[30:31], 2.0, -v[10:11]
	v_fma_f64 v[28:29], v[42:43], 2.0, -v[12:13]
	;; [unrolled: 1-line block ×4, first 2 shown]
	ds_store_b128 v32, v[20:23] offset:320
	ds_store_b128 v32, v[16:19] offset:480
	;; [unrolled: 1-line block ×4, first 2 shown]
	ds_store_b128 v32, v[28:31]
	ds_store_b128 v32, v[24:27] offset:160
	ds_store_b128 v32, v[4:7] offset:960
	;; [unrolled: 1-line block ×3, first 2 shown]
.LBB0_21:
	s_wait_alu 0xfffe
	s_or_b32 exec_lo, exec_lo, s1
	v_mul_u32_u24_e32 v0, 5, v128
	global_wb scope:SCOPE_SE
	s_wait_dscnt 0x0
	s_barrier_signal -1
	s_barrier_wait -1
	global_inv scope:SCOPE_SE
	v_lshlrev_b32_e32 v0, 4, v0
	s_mov_b32 s0, 0xe8584caa
	s_mov_b32 s1, 0xbfebb67a
	;; [unrolled: 1-line block ×3, first 2 shown]
	s_wait_alu 0xfffe
	s_mov_b32 s2, s0
	s_clause 0x12
	global_load_b128 v[4:7], v0, s[4:5] offset:1120
	global_load_b128 v[8:11], v0, s[4:5] offset:1136
	;; [unrolled: 1-line block ×19, first 2 shown]
	v_add_nc_u32_e32 v1, 0x1400, v0
	s_clause 0x5
	global_load_b128 v[80:83], v0, s[4:5] offset:5024
	global_load_b128 v[84:87], v1, s[4:5] offset:1120
	;; [unrolled: 1-line block ×6, first 2 shown]
	ds_load_b128 v[104:107], v129 offset:1280
	ds_load_b128 v[108:111], v129 offset:2560
	;; [unrolled: 1-line block ×6, first 2 shown]
	ds_load_b128 v[124:127], v162
	ds_load_b128 v[132:135], v129 offset:256
	ds_load_b128 v[136:139], v129 offset:2816
	;; [unrolled: 1-line block ×21, first 2 shown]
	s_wait_loadcnt_dscnt 0x181b
	v_mul_f64_e32 v[220:221], v[106:107], v[6:7]
	v_mul_f64_e32 v[6:7], v[104:105], v[6:7]
	s_wait_loadcnt_dscnt 0x1619
	v_mul_f64_e32 v[224:225], v[114:115], v[14:15]
	v_mul_f64_e32 v[14:15], v[112:113], v[14:15]
	;; [unrolled: 3-line block ×3, first 2 shown]
	v_mul_f64_e32 v[222:223], v[110:111], v[10:11]
	s_wait_loadcnt_dscnt 0x1417
	v_mul_f64_e32 v[228:229], v[122:123], v[22:23]
	v_mul_f64_e32 v[22:23], v[120:121], v[22:23]
	s_wait_loadcnt_dscnt 0x1311
	v_mul_f64_e32 v[230:231], v[146:147], v[26:27]
	v_mul_f64_e32 v[26:27], v[144:145], v[26:27]
	s_wait_loadcnt 0x12
	v_mul_f64_e32 v[232:233], v[138:139], v[30:31]
	v_mul_f64_e32 v[30:31], v[136:137], v[30:31]
	s_wait_loadcnt_dscnt 0x110f
	v_mul_f64_e32 v[234:235], v[154:155], v[34:35]
	v_mul_f64_e32 v[34:35], v[152:153], v[34:35]
	v_mul_f64_e32 v[10:11], v[108:109], v[10:11]
	s_wait_loadcnt 0x10
	v_mul_f64_e32 v[236:237], v[142:143], v[38:39]
	v_fma_f64 v[104:105], v[104:105], v[4:5], v[220:221]
	v_fma_f64 v[106:107], v[106:107], v[4:5], -v[6:7]
	v_mul_f64_e32 v[4:5], v[140:141], v[38:39]
	s_wait_loadcnt_dscnt 0xf0c
	v_mul_f64_e32 v[38:39], v[168:169], v[42:43]
	v_fma_f64 v[112:113], v[112:113], v[12:13], v[224:225]
	v_fma_f64 v[12:13], v[114:115], v[12:13], -v[14:15]
	s_wait_loadcnt 0xc
	v_mul_f64_e32 v[14:15], v[156:157], v[54:55]
	v_fma_f64 v[116:117], v[116:117], v[16:17], v[226:227]
	v_fma_f64 v[16:17], v[118:119], v[16:17], -v[18:19]
	s_wait_loadcnt_dscnt 0xa0b
	v_mul_f64_e32 v[18:19], v[172:173], v[62:63]
	v_mul_f64_e32 v[6:7], v[170:171], v[42:43]
	;; [unrolled: 1-line block ×3, first 2 shown]
	v_fma_f64 v[108:109], v[108:109], v[8:9], v[222:223]
	v_mul_f64_e32 v[46:47], v[148:149], v[46:47]
	s_wait_dscnt 0xa
	v_mul_f64_e32 v[220:221], v[178:179], v[50:51]
	v_mul_f64_e32 v[50:51], v[176:177], v[50:51]
	;; [unrolled: 1-line block ×3, first 2 shown]
	s_wait_dscnt 0x8
	v_mul_f64_e32 v[54:55], v[186:187], v[58:59]
	v_mul_f64_e32 v[58:59], v[184:185], v[58:59]
	;; [unrolled: 1-line block ×3, first 2 shown]
	s_wait_loadcnt_dscnt 0x905
	v_mul_f64_e32 v[62:63], v[198:199], v[66:67]
	v_mul_f64_e32 v[66:67], v[196:197], v[66:67]
	s_wait_loadcnt 0x8
	v_mul_f64_e32 v[118:119], v[182:183], v[70:71]
	v_fma_f64 v[120:121], v[120:121], v[20:21], v[228:229]
	v_fma_f64 v[20:21], v[122:123], v[20:21], -v[22:23]
	v_mul_f64_e32 v[22:23], v[180:181], v[70:71]
	s_wait_loadcnt_dscnt 0x703
	v_mul_f64_e32 v[70:71], v[206:207], v[74:75]
	v_mul_f64_e32 v[74:75], v[204:205], v[74:75]
	s_wait_loadcnt 0x6
	v_mul_f64_e32 v[122:123], v[190:191], v[78:79]
	v_fma_f64 v[144:145], v[144:145], v[24:25], v[230:231]
	v_fma_f64 v[24:25], v[146:147], v[24:25], -v[26:27]
	v_mul_f64_e32 v[26:27], v[188:189], v[78:79]
	;; [unrolled: 8-line block ×3, first 2 shown]
	s_wait_loadcnt 0x3
	v_mul_f64_e32 v[86:87], v[166:167], v[90:91]
	v_fma_f64 v[152:153], v[152:153], v[32:33], v[234:235]
	v_fma_f64 v[32:33], v[154:155], v[32:33], -v[34:35]
	s_wait_loadcnt 0x2
	v_mul_f64_e32 v[34:35], v[208:209], v[94:95]
	s_wait_loadcnt_dscnt 0x0
	v_mul_f64_e32 v[154:155], v[218:219], v[102:103]
	v_mul_f64_e32 v[102:103], v[216:217], v[102:103]
	v_fma_f64 v[110:111], v[110:111], v[8:9], -v[10:11]
	v_mul_f64_e32 v[90:91], v[164:165], v[90:91]
	v_mul_f64_e32 v[138:139], v[210:211], v[94:95]
	;; [unrolled: 1-line block ×4, first 2 shown]
	v_fma_f64 v[38:39], v[170:171], v[40:41], -v[38:39]
	v_fma_f64 v[14:15], v[158:159], v[52:53], -v[14:15]
	;; [unrolled: 1-line block ×3, first 2 shown]
	v_fma_f64 v[140:141], v[140:141], v[36:37], v[236:237]
	v_fma_f64 v[36:37], v[142:143], v[36:37], -v[4:5]
	v_fma_f64 v[142:143], v[168:169], v[40:41], v[6:7]
	v_fma_f64 v[40:41], v[148:149], v[44:45], v[42:43]
	v_fma_f64 v[42:43], v[150:151], v[44:45], -v[46:47]
	v_fma_f64 v[44:45], v[176:177], v[48:49], v[220:221]
	v_fma_f64 v[46:47], v[178:179], v[48:49], -v[50:51]
	v_fma_f64 v[48:49], v[156:157], v[52:53], v[222:223]
	v_fma_f64 v[50:51], v[184:185], v[56:57], v[54:55]
	v_fma_f64 v[52:53], v[186:187], v[56:57], -v[58:59]
	v_fma_f64 v[56:57], v[196:197], v[64:65], v[62:63]
	v_fma_f64 v[58:59], v[198:199], v[64:65], -v[66:67]
	;; [unrolled: 2-line block ×3, first 2 shown]
	v_fma_f64 v[54:55], v[172:173], v[60:61], v[114:115]
	v_fma_f64 v[60:61], v[180:181], v[68:69], v[118:119]
	v_fma_f64 v[22:23], v[182:183], v[68:69], -v[22:23]
	v_fma_f64 v[66:67], v[188:189], v[76:77], v[122:123]
	v_fma_f64 v[26:27], v[190:191], v[76:77], -v[26:27]
	v_fma_f64 v[70:71], v[214:215], v[80:81], -v[82:83]
	v_fma_f64 v[68:69], v[212:213], v[80:81], v[78:79]
	v_fma_f64 v[72:73], v[200:201], v[84:85], v[146:147]
	ds_load_b128 v[4:7], v129 offset:512
	ds_load_b128 v[8:11], v129 offset:768
	v_fma_f64 v[30:31], v[202:203], v[84:85], -v[30:31]
	v_fma_f64 v[74:75], v[164:165], v[88:89], v[86:87]
	v_add_f64_e32 v[114:115], v[132:133], v[136:137]
	v_add_f64_e32 v[148:149], v[144:145], v[152:153]
	v_fma_f64 v[34:35], v[210:211], v[92:93], -v[34:35]
	v_fma_f64 v[84:85], v[216:217], v[100:101], v[154:155]
	v_fma_f64 v[86:87], v[218:219], v[100:101], -v[102:103]
	v_add_f64_e32 v[100:101], v[104:105], v[112:113]
	v_fma_f64 v[76:77], v[166:167], v[88:89], -v[90:91]
	v_fma_f64 v[78:79], v[208:209], v[92:93], v[138:139]
	v_fma_f64 v[80:81], v[192:193], v[96:97], v[94:95]
	v_fma_f64 v[82:83], v[194:195], v[96:97], -v[98:99]
	v_add_f64_e32 v[88:89], v[124:125], v[108:109]
	v_add_f64_e32 v[90:91], v[108:109], v[116:117]
	v_add_f64_e64 v[92:93], v[110:111], -v[16:17]
	v_add_f64_e32 v[94:95], v[126:127], v[110:111]
	v_add_f64_e32 v[96:97], v[110:111], v[16:17]
	v_add_f64_e64 v[98:99], v[108:109], -v[116:117]
	v_add_f64_e64 v[108:109], v[12:13], -v[20:21]
	v_add_f64_e32 v[110:111], v[106:107], v[12:13]
	v_add_f64_e32 v[12:13], v[12:13], v[20:21]
	;; [unrolled: 1-line block ×5, first 2 shown]
	v_add_f64_e64 v[112:113], v[112:113], -v[120:121]
	v_add_f64_e64 v[174:175], v[14:15], -v[18:19]
	v_add_f64_e32 v[14:15], v[42:43], v[14:15]
	v_add_f64_e32 v[118:119], v[136:137], v[140:141]
	v_add_f64_e64 v[122:123], v[28:29], -v[36:37]
	v_add_f64_e32 v[138:139], v[134:135], v[28:29]
	v_add_f64_e32 v[28:29], v[28:29], v[36:37]
	;; [unrolled: 1-line block ×3, first 2 shown]
	v_add_f64_e64 v[154:155], v[32:33], -v[38:39]
	v_add_f64_e32 v[32:33], v[24:25], v[32:33]
	v_add_f64_e32 v[176:177], v[64:65], v[70:71]
	v_add_f64_e64 v[152:153], v[152:153], -v[142:143]
	v_add_f64_e64 v[182:183], v[22:23], -v[26:27]
	s_wait_dscnt 0x0
	v_add_f64_e32 v[184:185], v[10:11], v[22:23]
	v_add_f64_e32 v[22:23], v[22:23], v[26:27]
	;; [unrolled: 1-line block ×4, first 2 shown]
	v_add_f64_e64 v[48:49], v[48:49], -v[54:55]
	v_add_f64_e32 v[190:191], v[62:63], v[68:69]
	v_add_f64_e64 v[192:193], v[64:65], -v[70:71]
	v_add_f64_e32 v[186:187], v[34:35], v[86:87]
	v_add_f64_e32 v[64:65], v[58:59], v[64:65]
	;; [unrolled: 1-line block ×6, first 2 shown]
	v_add_f64_e64 v[62:63], v[62:63], -v[68:69]
	v_add_f64_e32 v[200:201], v[78:79], v[84:85]
	v_add_f64_e64 v[202:203], v[34:35], -v[86:87]
	v_add_f64_e32 v[34:35], v[30:31], v[34:35]
	;; [unrolled: 2-line block ×3, first 2 shown]
	v_add_f64_e32 v[46:47], v[46:47], v[52:53]
	v_add_f64_e64 v[196:197], v[76:77], -v[82:83]
	v_fma_f64 v[12:13], v[12:13], -0.5, v[106:107]
	v_fma_f64 v[24:25], v[146:147], -0.5, v[24:25]
	v_add_f64_e32 v[106:107], v[0:1], v[74:75]
	v_add_f64_e32 v[146:147], v[72:73], v[78:79]
	v_fma_f64 v[42:43], v[164:165], -0.5, v[42:43]
	v_add_f64_e32 v[76:77], v[76:77], v[82:83]
	v_add_f64_e64 v[78:79], v[78:79], -v[84:85]
	v_add_f64_e32 v[16:17], v[94:95], v[16:17]
	v_add_f64_e32 v[20:21], v[110:111], v[20:21]
	;; [unrolled: 1-line block ×3, first 2 shown]
	v_fma_f64 v[90:91], v[90:91], -0.5, v[124:125]
	v_fma_f64 v[94:95], v[96:97], -0.5, v[126:127]
	v_add_f64_e32 v[96:97], v[100:101], v[120:121]
	v_fma_f64 v[100:101], v[102:103], -0.5, v[104:105]
	v_fma_f64 v[58:59], v[176:177], -0.5, v[58:59]
	v_add_f64_e32 v[116:117], v[14:15], v[18:19]
	v_add_f64_e64 v[136:137], v[136:137], -v[140:141]
	v_add_f64_e32 v[194:195], v[74:75], v[80:81]
	v_fma_f64 v[104:105], v[118:119], -0.5, v[132:133]
	v_fma_f64 v[28:29], v[28:29], -0.5, v[134:135]
	v_add_f64_e32 v[180:181], v[60:61], v[66:67]
	v_add_f64_e32 v[102:103], v[114:115], v[140:141]
	v_fma_f64 v[114:115], v[150:151], -0.5, v[144:145]
	v_add_f64_e32 v[118:119], v[184:185], v[26:27]
	v_fma_f64 v[30:31], v[186:187], -0.5, v[30:31]
	v_fma_f64 v[26:27], v[22:23], -0.5, v[10:11]
	v_add_f64_e64 v[74:75], v[74:75], -v[80:81]
	v_add_f64_e32 v[36:37], v[138:139], v[36:37]
	v_add_f64_e32 v[32:33], v[32:33], v[38:39]
	v_fma_f64 v[40:41], v[172:173], -0.5, v[40:41]
	v_fma_f64 v[18:19], v[190:191], -0.5, v[56:57]
	v_add_f64_e32 v[56:57], v[64:65], v[70:71]
	v_add_f64_e32 v[110:111], v[148:149], v[142:143]
	v_add_f64_e64 v[44:45], v[44:45], -v[50:51]
	v_add_f64_e32 v[38:39], v[156:157], v[50:51]
	v_fma_f64 v[50:51], v[158:159], -0.5, v[4:5]
	v_fma_f64 v[46:47], v[46:47], -0.5, v[6:7]
	v_add_f64_e32 v[178:179], v[8:9], v[60:61]
	s_wait_alu 0xfffe
	v_fma_f64 v[14:15], v[112:113], s[2:3], v[12:13]
	v_fma_f64 v[12:13], v[112:113], s[0:1], v[12:13]
	;; [unrolled: 1-line block ×3, first 2 shown]
	v_add_f64_e32 v[64:65], v[106:107], v[80:81]
	v_add_f64_e32 v[80:81], v[198:199], v[82:83]
	;; [unrolled: 1-line block ×3, first 2 shown]
	v_fma_f64 v[84:85], v[48:49], s[2:3], v[42:43]
	v_fma_f64 v[24:25], v[152:153], s[0:1], v[24:25]
	;; [unrolled: 1-line block ×3, first 2 shown]
	v_fma_f64 v[48:49], v[200:201], -0.5, v[72:73]
	v_add_f64_e32 v[72:73], v[34:35], v[86:87]
	v_fma_f64 v[76:77], v[76:77], -0.5, v[2:3]
	v_add_f64_e32 v[2:3], v[16:17], v[20:21]
	v_add_f64_e64 v[6:7], v[16:17], -v[20:21]
	v_fma_f64 v[34:35], v[62:63], s[2:3], v[58:59]
	v_fma_f64 v[58:59], v[62:63], s[0:1], v[58:59]
	;; [unrolled: 1-line block ×7, first 2 shown]
	v_fma_f64 v[70:71], v[194:195], -0.5, v[0:1]
	v_fma_f64 v[62:63], v[108:109], s[0:1], v[100:101]
	v_add_f64_e32 v[0:1], v[88:89], v[96:97]
	v_fma_f64 v[16:17], v[78:79], s[2:3], v[30:31]
	v_fma_f64 v[20:21], v[78:79], s[0:1], v[30:31]
	v_add_f64_e64 v[4:5], v[88:89], -v[96:97]
	v_fma_f64 v[88:89], v[122:123], s[0:1], v[104:105]
	v_fma_f64 v[78:79], v[122:123], s[2:3], v[104:105]
	;; [unrolled: 1-line block ×4, first 2 shown]
	v_fma_f64 v[112:113], v[180:181], -0.5, v[8:9]
	v_fma_f64 v[108:109], v[154:155], s[0:1], v[114:115]
	v_add_f64_e32 v[10:11], v[36:37], v[32:33]
	v_add_f64_e32 v[52:53], v[168:169], v[52:53]
	v_fma_f64 v[114:115], v[154:155], s[2:3], v[114:115]
	v_add_f64_e32 v[8:9], v[102:103], v[110:111]
	v_add_f64_e64 v[60:61], v[60:61], -v[66:67]
	v_mul_f64_e32 v[28:29], s[0:1], v[14:15]
	v_mul_f64_e32 v[30:31], s[0:1], v[12:13]
	v_mul_f64_e32 v[106:107], -0.5, v[12:13]
	v_mul_f64_e32 v[104:105], 0.5, v[14:15]
	v_mul_f64_e32 v[120:121], s[0:1], v[22:23]
	v_mul_f64_e32 v[124:125], 0.5, v[22:23]
	v_add_f64_e64 v[14:15], v[36:37], -v[32:33]
	v_fma_f64 v[32:33], v[174:175], s[0:1], v[40:41]
	v_fma_f64 v[36:37], v[174:175], s[2:3], v[40:41]
	v_mul_f64_e32 v[40:41], s[0:1], v[84:85]
	v_mul_f64_e32 v[84:85], 0.5, v[84:85]
	v_mul_f64_e32 v[122:123], s[0:1], v[24:25]
	v_mul_f64_e32 v[24:25], -0.5, v[24:25]
	v_add_f64_e64 v[12:13], v[102:103], -v[110:111]
	v_mul_f64_e32 v[102:103], s[0:1], v[42:43]
	v_mul_f64_e32 v[42:43], -0.5, v[42:43]
	v_fma_f64 v[110:111], v[166:167], s[0:1], v[50:51]
	v_fma_f64 v[126:127], v[166:167], s[2:3], v[50:51]
	;; [unrolled: 1-line block ×3, first 2 shown]
	v_mul_f64_e32 v[134:135], s[0:1], v[34:35]
	v_mul_f64_e32 v[34:35], 0.5, v[34:35]
	v_fma_f64 v[132:133], v[192:193], s[2:3], v[18:19]
	v_mul_f64_e32 v[136:137], s[0:1], v[58:59]
	v_fma_f64 v[138:139], v[44:45], s[2:3], v[46:47]
	v_fma_f64 v[140:141], v[44:45], s[0:1], v[46:47]
	v_fma_f64 v[44:45], v[202:203], s[0:1], v[48:49]
	v_fma_f64 v[46:47], v[202:203], s[2:3], v[48:49]
	v_mul_f64_e32 v[48:49], s[0:1], v[16:17]
	v_mul_f64_e32 v[142:143], 0.5, v[16:17]
	v_mul_f64_e32 v[58:59], -0.5, v[58:59]
	v_mul_f64_e32 v[144:145], s[0:1], v[20:21]
	v_mul_f64_e32 v[146:147], -0.5, v[20:21]
	v_add_f64_e32 v[54:55], v[170:171], v[54:55]
	v_add_f64_e32 v[66:67], v[178:179], v[66:67]
	v_add_f64_e32 v[68:69], v[188:189], v[68:69]
	v_add_f64_e32 v[18:19], v[52:53], v[116:117]
	v_add_f64_e64 v[22:23], v[52:53], -v[116:117]
	v_fma_f64 v[164:165], v[74:75], s[2:3], v[76:77]
	v_fma_f64 v[148:149], v[62:63], 0.5, v[28:29]
	v_fma_f64 v[150:151], v[98:99], -0.5, v[30:31]
	v_fma_f64 v[98:99], v[98:99], s[2:3], v[106:107]
	v_fma_f64 v[62:63], v[62:63], s[2:3], v[104:105]
	;; [unrolled: 1-line block ×4, first 2 shown]
	v_fma_f64 v[112:113], v[108:109], 0.5, v[120:121]
	v_fma_f64 v[108:109], v[108:109], s[2:3], v[124:125]
	v_fma_f64 v[120:121], v[60:61], s[2:3], v[26:27]
	v_fma_f64 v[124:125], v[32:33], 0.5, v[40:41]
	v_fma_f64 v[152:153], v[32:33], s[2:3], v[84:85]
	v_fma_f64 v[116:117], v[114:115], -0.5, v[122:123]
	v_fma_f64 v[114:115], v[114:115], s[2:3], v[24:25]
	v_fma_f64 v[122:123], v[60:61], s[0:1], v[26:27]
	v_fma_f64 v[102:103], v[36:37], -0.5, v[102:103]
	v_fma_f64 v[154:155], v[36:37], s[2:3], v[42:43]
	v_add_f64_e32 v[26:27], v[118:119], v[56:57]
	v_add_f64_e64 v[30:31], v[118:119], -v[56:57]
	v_fma_f64 v[118:119], v[196:197], s[0:1], v[70:71]
	v_fma_f64 v[134:135], v[50:51], 0.5, v[134:135]
	v_fma_f64 v[158:159], v[50:51], s[2:3], v[34:35]
	v_fma_f64 v[156:157], v[196:197], s[2:3], v[70:71]
	v_fma_f64 v[136:137], v[132:133], -0.5, v[136:137]
	v_fma_f64 v[166:167], v[74:75], s[0:1], v[76:77]
	v_add_f64_e64 v[36:37], v[64:65], -v[82:83]
	v_add_f64_e32 v[34:35], v[80:81], v[72:73]
	v_add_f64_e32 v[32:33], v[64:65], v[82:83]
	v_fma_f64 v[168:169], v[44:45], 0.5, v[48:49]
	v_fma_f64 v[142:143], v[44:45], s[2:3], v[142:143]
	v_fma_f64 v[132:133], v[132:133], s[2:3], v[58:59]
	v_fma_f64 v[144:145], v[46:47], -0.5, v[144:145]
	v_fma_f64 v[146:147], v[46:47], s[2:3], v[146:147]
	v_add_f64_e64 v[20:21], v[38:39], -v[54:55]
	v_add_f64_e32 v[16:17], v[38:39], v[54:55]
	v_add_f64_e32 v[24:25], v[66:67], v[68:69]
	v_add_f64_e64 v[28:29], v[66:67], -v[68:69]
	v_add_f64_e64 v[38:39], v[80:81], -v[72:73]
	global_wb scope:SCOPE_SE
	v_add_f64_e64 v[48:49], v[86:87], -v[148:149]
	v_add_f64_e32 v[44:45], v[90:91], v[150:151]
	v_add_f64_e32 v[46:47], v[94:95], v[98:99]
	v_add_f64_e64 v[50:51], v[92:93], -v[62:63]
	v_add_f64_e64 v[52:53], v[90:91], -v[150:151]
	;; [unrolled: 1-line block ×3, first 2 shown]
	v_add_f64_e32 v[56:57], v[88:89], v[112:113]
	v_add_f64_e32 v[58:59], v[96:97], v[108:109]
	;; [unrolled: 1-line block ×7, first 2 shown]
	v_add_f64_e64 v[68:69], v[78:79], -v[116:117]
	v_add_f64_e32 v[76:77], v[126:127], v[102:103]
	v_add_f64_e32 v[78:79], v[140:141], v[154:155]
	v_add_f64_e64 v[64:65], v[88:89], -v[112:113]
	v_add_f64_e64 v[66:67], v[96:97], -v[108:109]
	;; [unrolled: 1-line block ×5, first 2 shown]
	v_add_f64_e32 v[40:41], v[86:87], v[148:149]
	v_add_f64_e64 v[84:85], v[126:127], -v[102:103]
	v_add_f64_e64 v[86:87], v[140:141], -v[154:155]
	v_add_f64_e32 v[88:89], v[104:105], v[134:135]
	v_add_f64_e32 v[90:91], v[120:121], v[158:159]
	;; [unrolled: 1-line block ×3, first 2 shown]
	v_add_f64_e64 v[96:97], v[104:105], -v[134:135]
	v_add_f64_e64 v[100:101], v[106:107], -v[136:137]
	v_add_f64_e32 v[104:105], v[118:119], v[168:169]
	v_add_f64_e32 v[106:107], v[164:165], v[142:143]
	;; [unrolled: 1-line block ×5, first 2 shown]
	v_add_f64_e64 v[98:99], v[120:121], -v[158:159]
	v_add_f64_e64 v[112:113], v[118:119], -v[168:169]
	;; [unrolled: 1-line block ×6, first 2 shown]
	v_lshl_add_u32 v120, v161, 4, v163
	s_barrier_signal -1
	s_barrier_wait -1
	global_inv scope:SCOPE_SE
	ds_store_b128 v129, v[0:3]
	ds_store_b128 v129, v[8:11] offset:256
	ds_store_b128 v120, v[12:15] offset:4096
	;; [unrolled: 1-line block ×29, first 2 shown]
	global_wb scope:SCOPE_SE
	s_wait_dscnt 0x0
	s_barrier_signal -1
	s_barrier_wait -1
	global_inv scope:SCOPE_SE
	s_and_saveexec_b32 s0, vcc_lo
	s_cbranch_execz .LBB0_23
; %bb.22:
	v_dual_mov_b32 v129, 0 :: v_dual_add_nc_u32 v8, 16, v128
	v_add_co_u32 v36, vcc_lo, s8, v130
	v_lshl_add_u32 v34, v128, 4, v160
	s_delay_alu instid0(VALU_DEP_3) | instskip(SKIP_4) | instid1(VALU_DEP_4)
	v_lshlrev_b64_e32 v[0:1], 4, v[128:129]
	s_wait_alu 0xfffd
	v_add_co_ci_u32_e32 v37, vcc_lo, s9, v131, vcc_lo
	v_dual_mov_b32 v9, v129 :: v_dual_add_nc_u32 v10, 32, v128
	v_dual_mov_b32 v11, v129 :: v_dual_add_nc_u32 v22, 48, v128
	v_add_co_u32 v16, vcc_lo, v36, v0
	s_wait_alu 0xfffd
	v_add_co_ci_u32_e32 v17, vcc_lo, v37, v1, vcc_lo
	ds_load_b128 v[0:3], v34
	ds_load_b128 v[4:7], v34 offset:256
	v_lshlrev_b64_e32 v[18:19], 4, v[8:9]
	v_lshlrev_b64_e32 v[20:21], 4, v[10:11]
	ds_load_b128 v[8:11], v34 offset:512
	ds_load_b128 v[12:15], v34 offset:768
	v_dual_mov_b32 v23, v129 :: v_dual_add_nc_u32 v24, 64, v128
	v_mov_b32_e32 v25, v129
	v_add_co_u32 v18, vcc_lo, v36, v18
	s_delay_alu instid0(VALU_DEP_3)
	v_lshlrev_b64_e32 v[22:23], 4, v[22:23]
	s_wait_alu 0xfffd
	v_add_co_ci_u32_e32 v19, vcc_lo, v37, v19, vcc_lo
	v_add_co_u32 v20, vcc_lo, v36, v20
	s_wait_alu 0xfffd
	v_add_co_ci_u32_e32 v21, vcc_lo, v37, v21, vcc_lo
	v_add_co_u32 v22, vcc_lo, v36, v22
	s_wait_alu 0xfffd
	v_add_co_ci_u32_e32 v23, vcc_lo, v37, v23, vcc_lo
	s_wait_dscnt 0x3
	global_store_b128 v[16:17], v[0:3], off
	s_wait_dscnt 0x2
	global_store_b128 v[18:19], v[4:7], off
	;; [unrolled: 2-line block ×4, first 2 shown]
	v_add_nc_u32_e32 v8, 0x50, v128
	v_lshlrev_b64_e32 v[0:1], 4, v[24:25]
	v_dual_mov_b32 v9, v129 :: v_dual_add_nc_u32 v10, 0x60, v128
	v_dual_mov_b32 v11, v129 :: v_dual_add_nc_u32 v22, 0x70, v128
	;; [unrolled: 1-line block ×3, first 2 shown]
	s_delay_alu instid0(VALU_DEP_4)
	v_add_co_u32 v16, vcc_lo, v36, v0
	s_wait_alu 0xfffd
	v_add_co_ci_u32_e32 v17, vcc_lo, v37, v1, vcc_lo
	ds_load_b128 v[0:3], v34 offset:1024
	ds_load_b128 v[4:7], v34 offset:1280
	v_lshlrev_b64_e32 v[18:19], 4, v[8:9]
	v_lshlrev_b64_e32 v[20:21], 4, v[10:11]
	ds_load_b128 v[8:11], v34 offset:1536
	ds_load_b128 v[12:15], v34 offset:1792
	v_lshlrev_b64_e32 v[22:23], 4, v[22:23]
	v_add_co_u32 v18, vcc_lo, v36, v18
	s_wait_alu 0xfffd
	v_add_co_ci_u32_e32 v19, vcc_lo, v37, v19, vcc_lo
	v_add_co_u32 v20, vcc_lo, v36, v20
	s_wait_alu 0xfffd
	v_add_co_ci_u32_e32 v21, vcc_lo, v37, v21, vcc_lo
	v_add_co_u32 v22, vcc_lo, v36, v22
	s_wait_alu 0xfffd
	v_add_co_ci_u32_e32 v23, vcc_lo, v37, v23, vcc_lo
	s_wait_dscnt 0x3
	global_store_b128 v[16:17], v[0:3], off
	s_wait_dscnt 0x2
	global_store_b128 v[18:19], v[4:7], off
	;; [unrolled: 2-line block ×4, first 2 shown]
	v_lshlrev_b64_e32 v[0:1], 4, v[24:25]
	v_dual_mov_b32 v9, v129 :: v_dual_add_nc_u32 v8, 0x90, v128
	v_dual_mov_b32 v11, v129 :: v_dual_add_nc_u32 v10, 0xa0, v128
	;; [unrolled: 1-line block ×3, first 2 shown]
	s_delay_alu instid0(VALU_DEP_4)
	v_add_co_u32 v16, vcc_lo, v36, v0
	s_wait_alu 0xfffd
	v_add_co_ci_u32_e32 v17, vcc_lo, v37, v1, vcc_lo
	ds_load_b128 v[0:3], v34 offset:2048
	ds_load_b128 v[4:7], v34 offset:2304
	v_lshlrev_b64_e32 v[18:19], 4, v[8:9]
	v_lshlrev_b64_e32 v[20:21], 4, v[10:11]
	ds_load_b128 v[8:11], v34 offset:2560
	ds_load_b128 v[12:15], v34 offset:2816
	v_lshlrev_b64_e32 v[22:23], 4, v[22:23]
	v_add_nc_u32_e32 v24, 0xc0, v128
	v_add_co_u32 v18, vcc_lo, v36, v18
	s_wait_alu 0xfffd
	v_add_co_ci_u32_e32 v19, vcc_lo, v37, v19, vcc_lo
	v_add_co_u32 v20, vcc_lo, v36, v20
	s_wait_alu 0xfffd
	v_add_co_ci_u32_e32 v21, vcc_lo, v37, v21, vcc_lo
	v_add_co_u32 v22, vcc_lo, v36, v22
	s_wait_alu 0xfffd
	v_add_co_ci_u32_e32 v23, vcc_lo, v37, v23, vcc_lo
	s_wait_dscnt 0x3
	global_store_b128 v[16:17], v[0:3], off
	s_wait_dscnt 0x2
	global_store_b128 v[18:19], v[4:7], off
	s_wait_dscnt 0x1
	global_store_b128 v[20:21], v[8:11], off
	s_wait_dscnt 0x0
	global_store_b128 v[22:23], v[12:15], off
	v_mov_b32_e32 v9, v129
	v_lshlrev_b64_e32 v[0:1], 4, v[24:25]
	v_dual_mov_b32 v11, v129 :: v_dual_add_nc_u32 v8, 0xd0, v128
	v_dual_mov_b32 v23, v129 :: v_dual_add_nc_u32 v10, 0xe0, v128
	v_add_nc_u32_e32 v22, 0xf0, v128
	s_delay_alu instid0(VALU_DEP_4)
	v_add_co_u32 v16, vcc_lo, v36, v0
	s_wait_alu 0xfffd
	v_add_co_ci_u32_e32 v17, vcc_lo, v37, v1, vcc_lo
	ds_load_b128 v[0:3], v34 offset:3072
	ds_load_b128 v[4:7], v34 offset:3328
	v_lshlrev_b64_e32 v[18:19], 4, v[8:9]
	v_lshlrev_b64_e32 v[20:21], 4, v[10:11]
	ds_load_b128 v[8:11], v34 offset:3584
	ds_load_b128 v[12:15], v34 offset:3840
	v_lshlrev_b64_e32 v[22:23], 4, v[22:23]
	v_add_nc_u32_e32 v24, 0x100, v128
	v_add_co_u32 v18, vcc_lo, v36, v18
	s_wait_alu 0xfffd
	v_add_co_ci_u32_e32 v19, vcc_lo, v37, v19, vcc_lo
	v_add_co_u32 v20, vcc_lo, v36, v20
	s_wait_alu 0xfffd
	v_add_co_ci_u32_e32 v21, vcc_lo, v37, v21, vcc_lo
	v_add_co_u32 v22, vcc_lo, v36, v22
	s_wait_alu 0xfffd
	v_add_co_ci_u32_e32 v23, vcc_lo, v37, v23, vcc_lo
	s_wait_dscnt 0x3
	global_store_b128 v[16:17], v[0:3], off
	s_wait_dscnt 0x2
	global_store_b128 v[18:19], v[4:7], off
	s_wait_dscnt 0x1
	global_store_b128 v[20:21], v[8:11], off
	s_wait_dscnt 0x0
	global_store_b128 v[22:23], v[12:15], off
	v_mov_b32_e32 v11, v129
	v_lshlrev_b64_e32 v[0:1], 4, v[24:25]
	v_dual_mov_b32 v23, v129 :: v_dual_add_nc_u32 v8, 0x110, v128
	v_dual_mov_b32 v9, v129 :: v_dual_add_nc_u32 v10, 0x120, v128
	v_add_nc_u32_e32 v22, 0x130, v128
	s_delay_alu instid0(VALU_DEP_4)
	v_add_co_u32 v16, vcc_lo, v36, v0
	s_wait_alu 0xfffd
	v_add_co_ci_u32_e32 v17, vcc_lo, v37, v1, vcc_lo
	ds_load_b128 v[0:3], v34 offset:4096
	ds_load_b128 v[4:7], v34 offset:4352
	v_lshlrev_b64_e32 v[18:19], 4, v[8:9]
	v_lshlrev_b64_e32 v[20:21], 4, v[10:11]
	ds_load_b128 v[8:11], v34 offset:4608
	ds_load_b128 v[12:15], v34 offset:4864
	v_lshlrev_b64_e32 v[22:23], 4, v[22:23]
	v_add_nc_u32_e32 v24, 0x140, v128
	v_add_co_u32 v18, vcc_lo, v36, v18
	s_wait_alu 0xfffd
	v_add_co_ci_u32_e32 v19, vcc_lo, v37, v19, vcc_lo
	v_add_co_u32 v20, vcc_lo, v36, v20
	s_wait_alu 0xfffd
	v_add_co_ci_u32_e32 v21, vcc_lo, v37, v21, vcc_lo
	v_add_co_u32 v22, vcc_lo, v36, v22
	s_wait_alu 0xfffd
	v_add_co_ci_u32_e32 v23, vcc_lo, v37, v23, vcc_lo
	s_wait_dscnt 0x3
	global_store_b128 v[16:17], v[0:3], off
	s_wait_dscnt 0x2
	global_store_b128 v[18:19], v[4:7], off
	s_wait_dscnt 0x1
	global_store_b128 v[20:21], v[8:11], off
	s_wait_dscnt 0x0
	global_store_b128 v[22:23], v[12:15], off
	v_mov_b32_e32 v23, v129
	v_lshlrev_b64_e32 v[0:1], 4, v[24:25]
	v_dual_mov_b32 v9, v129 :: v_dual_add_nc_u32 v8, 0x150, v128
	v_dual_mov_b32 v11, v129 :: v_dual_add_nc_u32 v10, 0x160, v128
	v_add_nc_u32_e32 v22, 0x170, v128
	s_delay_alu instid0(VALU_DEP_4)
	v_add_co_u32 v16, vcc_lo, v36, v0
	s_wait_alu 0xfffd
	v_add_co_ci_u32_e32 v17, vcc_lo, v37, v1, vcc_lo
	ds_load_b128 v[0:3], v34 offset:5120
	ds_load_b128 v[4:7], v34 offset:5376
	v_lshlrev_b64_e32 v[18:19], 4, v[8:9]
	v_lshlrev_b64_e32 v[20:21], 4, v[10:11]
	ds_load_b128 v[8:11], v34 offset:5632
	ds_load_b128 v[12:15], v34 offset:5888
	v_add_nc_u32_e32 v24, 0x180, v128
	v_add_co_u32 v18, vcc_lo, v36, v18
	s_wait_alu 0xfffd
	v_add_co_ci_u32_e32 v19, vcc_lo, v37, v19, vcc_lo
	s_wait_dscnt 0x3
	global_store_b128 v[16:17], v[0:3], off
	s_wait_dscnt 0x2
	global_store_b128 v[18:19], v[4:7], off
	v_mov_b32_e32 v19, v129
	v_mov_b32_e32 v17, v129
	v_lshlrev_b64_e32 v[22:23], 4, v[22:23]
	v_add_co_u32 v20, vcc_lo, v36, v20
	s_wait_alu 0xfffd
	v_add_co_ci_u32_e32 v21, vcc_lo, v37, v21, vcc_lo
	v_add_nc_u32_e32 v2, 0x190, v128
	s_delay_alu instid0(VALU_DEP_4)
	v_add_co_u32 v22, vcc_lo, v36, v22
	v_mov_b32_e32 v3, v129
	s_wait_alu 0xfffd
	v_add_co_ci_u32_e32 v23, vcc_lo, v37, v23, vcc_lo
	v_lshlrev_b64_e32 v[0:1], 4, v[24:25]
	s_wait_dscnt 0x1
	global_store_b128 v[20:21], v[8:11], off
	s_wait_dscnt 0x0
	global_store_b128 v[22:23], v[12:15], off
	v_lshlrev_b64_e32 v[8:9], 4, v[2:3]
	v_dual_mov_b32 v11, v129 :: v_dual_add_nc_u32 v10, 0x1a0, v128
	v_add_co_u32 v24, vcc_lo, v36, v0
	s_wait_alu 0xfffd
	v_add_co_ci_u32_e32 v25, vcc_lo, v37, v1, vcc_lo
	s_delay_alu instid0(VALU_DEP_4)
	v_add_co_u32 v26, vcc_lo, v36, v8
	s_wait_alu 0xfffd
	v_add_co_ci_u32_e32 v27, vcc_lo, v37, v9, vcc_lo
	v_lshlrev_b64_e32 v[8:9], 4, v[10:11]
	v_add_nc_u32_e32 v16, 0x1b0, v128
	v_add_nc_u32_e32 v18, 0x1c0, v128
	ds_load_b128 v[0:3], v34 offset:6144
	ds_load_b128 v[4:7], v34 offset:6400
	v_add_nc_u32_e32 v128, 0x1d0, v128
	v_add_co_u32 v28, vcc_lo, v36, v8
	s_wait_alu 0xfffd
	v_add_co_ci_u32_e32 v29, vcc_lo, v37, v9, vcc_lo
	ds_load_b128 v[8:11], v34 offset:6656
	ds_load_b128 v[12:15], v34 offset:6912
	v_lshlrev_b64_e32 v[30:31], 4, v[16:17]
	v_lshlrev_b64_e32 v[32:33], 4, v[18:19]
	ds_load_b128 v[16:19], v34 offset:7168
	ds_load_b128 v[20:23], v34 offset:7424
	v_lshlrev_b64_e32 v[34:35], 4, v[128:129]
	v_add_co_u32 v30, vcc_lo, v36, v30
	s_wait_alu 0xfffd
	v_add_co_ci_u32_e32 v31, vcc_lo, v37, v31, vcc_lo
	v_add_co_u32 v32, vcc_lo, v36, v32
	s_wait_alu 0xfffd
	v_add_co_ci_u32_e32 v33, vcc_lo, v37, v33, vcc_lo
	;; [unrolled: 3-line block ×3, first 2 shown]
	s_wait_dscnt 0x5
	global_store_b128 v[24:25], v[0:3], off
	s_wait_dscnt 0x4
	global_store_b128 v[26:27], v[4:7], off
	;; [unrolled: 2-line block ×6, first 2 shown]
.LBB0_23:
	s_nop 0
	s_sendmsg sendmsg(MSG_DEALLOC_VGPRS)
	s_endpgm
	.section	.rodata,"a",@progbits
	.p2align	6, 0x0
	.amdhsa_kernel fft_rtc_back_len480_factors_10_8_6_wgs_64_tpt_16_halfLds_dp_ip_CI_unitstride_sbrr_C2R_dirReg
		.amdhsa_group_segment_fixed_size 0
		.amdhsa_private_segment_fixed_size 0
		.amdhsa_kernarg_size 88
		.amdhsa_user_sgpr_count 2
		.amdhsa_user_sgpr_dispatch_ptr 0
		.amdhsa_user_sgpr_queue_ptr 0
		.amdhsa_user_sgpr_kernarg_segment_ptr 1
		.amdhsa_user_sgpr_dispatch_id 0
		.amdhsa_user_sgpr_private_segment_size 0
		.amdhsa_wavefront_size32 1
		.amdhsa_uses_dynamic_stack 0
		.amdhsa_enable_private_segment 0
		.amdhsa_system_sgpr_workgroup_id_x 1
		.amdhsa_system_sgpr_workgroup_id_y 0
		.amdhsa_system_sgpr_workgroup_id_z 0
		.amdhsa_system_sgpr_workgroup_info 0
		.amdhsa_system_vgpr_workitem_id 0
		.amdhsa_next_free_vgpr 249
		.amdhsa_next_free_sgpr 32
		.amdhsa_reserve_vcc 1
		.amdhsa_float_round_mode_32 0
		.amdhsa_float_round_mode_16_64 0
		.amdhsa_float_denorm_mode_32 3
		.amdhsa_float_denorm_mode_16_64 3
		.amdhsa_fp16_overflow 0
		.amdhsa_workgroup_processor_mode 1
		.amdhsa_memory_ordered 1
		.amdhsa_forward_progress 0
		.amdhsa_round_robin_scheduling 0
		.amdhsa_exception_fp_ieee_invalid_op 0
		.amdhsa_exception_fp_denorm_src 0
		.amdhsa_exception_fp_ieee_div_zero 0
		.amdhsa_exception_fp_ieee_overflow 0
		.amdhsa_exception_fp_ieee_underflow 0
		.amdhsa_exception_fp_ieee_inexact 0
		.amdhsa_exception_int_div_zero 0
	.end_amdhsa_kernel
	.text
.Lfunc_end0:
	.size	fft_rtc_back_len480_factors_10_8_6_wgs_64_tpt_16_halfLds_dp_ip_CI_unitstride_sbrr_C2R_dirReg, .Lfunc_end0-fft_rtc_back_len480_factors_10_8_6_wgs_64_tpt_16_halfLds_dp_ip_CI_unitstride_sbrr_C2R_dirReg
                                        ; -- End function
	.section	.AMDGPU.csdata,"",@progbits
; Kernel info:
; codeLenInByte = 17192
; NumSgprs: 34
; NumVgprs: 249
; ScratchSize: 0
; MemoryBound: 0
; FloatMode: 240
; IeeeMode: 1
; LDSByteSize: 0 bytes/workgroup (compile time only)
; SGPRBlocks: 4
; VGPRBlocks: 31
; NumSGPRsForWavesPerEU: 34
; NumVGPRsForWavesPerEU: 249
; Occupancy: 5
; WaveLimiterHint : 1
; COMPUTE_PGM_RSRC2:SCRATCH_EN: 0
; COMPUTE_PGM_RSRC2:USER_SGPR: 2
; COMPUTE_PGM_RSRC2:TRAP_HANDLER: 0
; COMPUTE_PGM_RSRC2:TGID_X_EN: 1
; COMPUTE_PGM_RSRC2:TGID_Y_EN: 0
; COMPUTE_PGM_RSRC2:TGID_Z_EN: 0
; COMPUTE_PGM_RSRC2:TIDIG_COMP_CNT: 0
	.text
	.p2alignl 7, 3214868480
	.fill 96, 4, 3214868480
	.type	__hip_cuid_89a0e6a1e7d0cc97,@object ; @__hip_cuid_89a0e6a1e7d0cc97
	.section	.bss,"aw",@nobits
	.globl	__hip_cuid_89a0e6a1e7d0cc97
__hip_cuid_89a0e6a1e7d0cc97:
	.byte	0                               ; 0x0
	.size	__hip_cuid_89a0e6a1e7d0cc97, 1

	.ident	"AMD clang version 19.0.0git (https://github.com/RadeonOpenCompute/llvm-project roc-6.4.0 25133 c7fe45cf4b819c5991fe208aaa96edf142730f1d)"
	.section	".note.GNU-stack","",@progbits
	.addrsig
	.addrsig_sym __hip_cuid_89a0e6a1e7d0cc97
	.amdgpu_metadata
---
amdhsa.kernels:
  - .args:
      - .actual_access:  read_only
        .address_space:  global
        .offset:         0
        .size:           8
        .value_kind:     global_buffer
      - .offset:         8
        .size:           8
        .value_kind:     by_value
      - .actual_access:  read_only
        .address_space:  global
        .offset:         16
        .size:           8
        .value_kind:     global_buffer
      - .actual_access:  read_only
        .address_space:  global
        .offset:         24
        .size:           8
        .value_kind:     global_buffer
      - .offset:         32
        .size:           8
        .value_kind:     by_value
      - .actual_access:  read_only
        .address_space:  global
        .offset:         40
        .size:           8
        .value_kind:     global_buffer
      - .actual_access:  read_only
        .address_space:  global
        .offset:         48
        .size:           8
        .value_kind:     global_buffer
      - .offset:         56
        .size:           4
        .value_kind:     by_value
      - .actual_access:  read_only
        .address_space:  global
        .offset:         64
        .size:           8
        .value_kind:     global_buffer
      - .actual_access:  read_only
        .address_space:  global
        .offset:         72
        .size:           8
        .value_kind:     global_buffer
      - .address_space:  global
        .offset:         80
        .size:           8
        .value_kind:     global_buffer
    .group_segment_fixed_size: 0
    .kernarg_segment_align: 8
    .kernarg_segment_size: 88
    .language:       OpenCL C
    .language_version:
      - 2
      - 0
    .max_flat_workgroup_size: 64
    .name:           fft_rtc_back_len480_factors_10_8_6_wgs_64_tpt_16_halfLds_dp_ip_CI_unitstride_sbrr_C2R_dirReg
    .private_segment_fixed_size: 0
    .sgpr_count:     34
    .sgpr_spill_count: 0
    .symbol:         fft_rtc_back_len480_factors_10_8_6_wgs_64_tpt_16_halfLds_dp_ip_CI_unitstride_sbrr_C2R_dirReg.kd
    .uniform_work_group_size: 1
    .uses_dynamic_stack: false
    .vgpr_count:     249
    .vgpr_spill_count: 0
    .wavefront_size: 32
    .workgroup_processor_mode: 1
amdhsa.target:   amdgcn-amd-amdhsa--gfx1201
amdhsa.version:
  - 1
  - 2
...

	.end_amdgpu_metadata
